;; amdgpu-corpus repo=ROCm/rocFFT kind=compiled arch=gfx1030 opt=O3
	.text
	.amdgcn_target "amdgcn-amd-amdhsa--gfx1030"
	.amdhsa_code_object_version 6
	.protected	fft_rtc_back_len208_factors_13_16_wgs_144_tpt_16_dp_ip_CI_sbcc_twdbase8_3step ; -- Begin function fft_rtc_back_len208_factors_13_16_wgs_144_tpt_16_dp_ip_CI_sbcc_twdbase8_3step
	.globl	fft_rtc_back_len208_factors_13_16_wgs_144_tpt_16_dp_ip_CI_sbcc_twdbase8_3step
	.p2align	8
	.type	fft_rtc_back_len208_factors_13_16_wgs_144_tpt_16_dp_ip_CI_sbcc_twdbase8_3step,@function
fft_rtc_back_len208_factors_13_16_wgs_144_tpt_16_dp_ip_CI_sbcc_twdbase8_3step: ; @fft_rtc_back_len208_factors_13_16_wgs_144_tpt_16_dp_ip_CI_sbcc_twdbase8_3step
; %bb.0:
	s_load_dwordx4 s[12:15], s[4:5], 0x18
	s_mov_b64 s[54:55], s[2:3]
	s_mov_b64 s[52:53], s[0:1]
	;; [unrolled: 1-line block ×3, first 2 shown]
	s_add_u32 s52, s52, s7
	s_addc_u32 s53, s53, 0
	s_waitcnt lgkmcnt(0)
	s_load_dwordx2 s[18:19], s[12:13], 0x8
	s_waitcnt lgkmcnt(0)
	s_add_u32 s0, s18, -1
	s_addc_u32 s1, s19, -1
	s_add_u32 s2, 0, 0x71c4fc00
	s_addc_u32 s3, 0, 0x7c
	s_mul_hi_u32 s8, s2, -9
	s_add_i32 s3, s3, 0x1c71c6a0
	s_sub_i32 s8, s8, s2
	s_mul_i32 s10, s3, -9
	s_mul_i32 s7, s2, -9
	s_add_i32 s8, s8, s10
	s_mul_hi_u32 s9, s2, s7
	s_mul_i32 s16, s2, s8
	s_mul_hi_u32 s10, s2, s8
	s_mul_hi_u32 s11, s3, s7
	s_mul_i32 s7, s3, s7
	s_add_u32 s9, s9, s16
	s_addc_u32 s10, 0, s10
	s_mul_hi_u32 s17, s3, s8
	s_add_u32 s7, s9, s7
	s_mul_i32 s8, s3, s8
	s_addc_u32 s7, s10, s11
	s_addc_u32 s9, s17, 0
	s_add_u32 s7, s7, s8
	v_add_co_u32 v1, s2, s2, s7
	s_addc_u32 s7, 0, s9
	s_cmp_lg_u32 s2, 0
	s_addc_u32 s2, s3, s7
	v_readfirstlane_b32 s3, v1
	s_mul_i32 s8, s0, s2
	s_mul_hi_u32 s7, s0, s2
	s_mul_hi_u32 s9, s1, s2
	s_mul_i32 s2, s1, s2
	s_mul_hi_u32 s10, s0, s3
	s_mul_hi_u32 s11, s1, s3
	s_mul_i32 s3, s1, s3
	s_add_u32 s8, s10, s8
	s_addc_u32 s7, 0, s7
	s_add_u32 s3, s8, s3
	s_addc_u32 s3, s7, s11
	s_addc_u32 s7, s9, 0
	s_add_u32 s2, s3, s2
	s_addc_u32 s3, 0, s7
	s_mul_i32 s8, s2, 9
	s_add_u32 s7, s2, 1
	v_sub_co_u32 v1, s0, s0, s8
	s_mul_hi_u32 s8, s2, 9
	s_addc_u32 s9, s3, 0
	s_mul_i32 s10, s3, 9
	v_sub_co_u32 v2, s11, v1, 9
	s_add_u32 s16, s2, 2
	s_addc_u32 s17, s3, 0
	s_add_i32 s8, s8, s10
	s_cmp_lg_u32 s0, 0
	v_readfirstlane_b32 s0, v2
	s_subb_u32 s1, s1, s8
	s_cmp_lg_u32 s11, 0
	s_subb_u32 s8, s1, 0
	s_cmp_gt_u32 s0, 8
	s_cselect_b32 s0, -1, 0
	s_cmp_eq_u32 s8, 0
	v_readfirstlane_b32 s8, v1
	s_cselect_b32 s0, s0, -1
	s_cmp_lg_u32 s0, 0
	s_cselect_b32 s0, s16, s7
	s_cselect_b32 s9, s17, s9
	s_cmp_gt_u32 s8, 8
	s_cselect_b32 s7, -1, 0
	s_cmp_eq_u32 s1, 0
	s_cselect_b32 s1, s7, -1
	s_mov_b32 s7, 0
	s_cmp_lg_u32 s1, 0
	s_cselect_b32 s0, s0, s2
	s_cselect_b32 s1, s9, s3
	s_add_u32 s20, s0, 1
	s_addc_u32 s21, s1, 0
	v_cmp_lt_u64_e64 s0, s[6:7], s[20:21]
	s_and_b32 vcc_lo, exec_lo, s0
	s_cbranch_vccnz .LBB0_2
; %bb.1:
	v_cvt_f32_u32_e32 v1, s20
	s_sub_i32 s1, 0, s20
	s_mov_b32 s23, s7
	v_rcp_iflag_f32_e32 v1, v1
	v_mul_f32_e32 v1, 0x4f7ffffe, v1
	v_cvt_u32_f32_e32 v1, v1
	v_readfirstlane_b32 s0, v1
	s_mul_i32 s1, s1, s0
	s_mul_hi_u32 s1, s0, s1
	s_add_i32 s0, s0, s1
	s_mul_hi_u32 s0, s6, s0
	s_mul_i32 s1, s0, s20
	s_add_i32 s2, s0, 1
	s_sub_i32 s1, s6, s1
	s_sub_i32 s3, s1, s20
	s_cmp_ge_u32 s1, s20
	s_cselect_b32 s0, s2, s0
	s_cselect_b32 s1, s3, s1
	s_add_i32 s2, s0, 1
	s_cmp_ge_u32 s1, s20
	s_cselect_b32 s22, s2, s0
.LBB0_2:
	s_load_dwordx4 s[0:3], s[14:15], 0x0
	s_clause 0x2
	s_load_dwordx4 s[8:11], s[4:5], 0x8
	s_load_dwordx2 s[16:17], s[4:5], 0x0
	s_load_dwordx2 s[4:5], s[4:5], 0x58
	s_mul_i32 s24, s22, s21
	s_mul_hi_u32 s25, s22, s20
	s_mul_i32 s26, s22, s20
	s_add_i32 s25, s25, s24
	s_sub_u32 s37, s6, s26
	s_subb_u32 s24, 0, s25
	s_mul_hi_u32 s36, s37, 9
	s_mul_i32 s24, s24, 9
	s_mul_i32 s37, s37, 9
	s_add_i32 s36, s36, s24
	s_waitcnt lgkmcnt(0)
	s_mul_i32 s24, s2, s36
	v_cmp_lt_u64_e64 s26, s[10:11], 3
	s_mul_hi_u32 s25, s2, s37
	s_mul_i32 s38, s2, s37
	s_add_i32 s24, s25, s24
	s_mul_i32 s25, s3, s37
	s_add_i32 s33, s24, s25
	s_and_b32 vcc_lo, exec_lo, s26
	s_cbranch_vccnz .LBB0_12
; %bb.3:
	s_add_u32 s24, s14, 16
	s_addc_u32 s25, s15, 0
	s_add_u32 s12, s12, 16
	s_addc_u32 s13, s13, 0
	s_mov_b64 s[26:27], 2
	s_mov_b32 s28, 0
.LBB0_4:                                ; =>This Inner Loop Header: Depth=1
	s_load_dwordx2 s[30:31], s[12:13], 0x0
	s_waitcnt lgkmcnt(0)
	s_or_b64 s[34:35], s[22:23], s[30:31]
	s_mov_b32 s29, s35
                                        ; implicit-def: $sgpr34_sgpr35
	s_cmp_lg_u64 s[28:29], 0
	s_mov_b32 s29, -1
	s_cbranch_scc0 .LBB0_6
; %bb.5:                                ;   in Loop: Header=BB0_4 Depth=1
	v_cvt_f32_u32_e32 v1, s30
	v_cvt_f32_u32_e32 v2, s31
	s_sub_u32 s35, 0, s30
	s_subb_u32 s39, 0, s31
	v_fmac_f32_e32 v1, 0x4f800000, v2
	v_rcp_f32_e32 v1, v1
	v_mul_f32_e32 v1, 0x5f7ffffc, v1
	v_mul_f32_e32 v2, 0x2f800000, v1
	v_trunc_f32_e32 v2, v2
	v_fmac_f32_e32 v1, 0xcf800000, v2
	v_cvt_u32_f32_e32 v2, v2
	v_cvt_u32_f32_e32 v1, v1
	v_readfirstlane_b32 s29, v2
	v_readfirstlane_b32 s34, v1
	s_mul_i32 s40, s35, s29
	s_mul_hi_u32 s42, s35, s34
	s_mul_i32 s41, s39, s34
	s_add_i32 s40, s42, s40
	s_mul_i32 s43, s35, s34
	s_add_i32 s40, s40, s41
	s_mul_hi_u32 s42, s34, s43
	s_mul_hi_u32 s44, s29, s43
	s_mul_i32 s41, s29, s43
	s_mul_hi_u32 s43, s34, s40
	s_mul_i32 s34, s34, s40
	s_mul_hi_u32 s45, s29, s40
	s_add_u32 s34, s42, s34
	s_addc_u32 s42, 0, s43
	s_add_u32 s34, s34, s41
	s_mul_i32 s40, s29, s40
	s_addc_u32 s34, s42, s44
	s_addc_u32 s41, s45, 0
	s_add_u32 s34, s34, s40
	s_addc_u32 s40, 0, s41
	v_add_co_u32 v1, s34, v1, s34
	s_cmp_lg_u32 s34, 0
	s_addc_u32 s29, s29, s40
	v_readfirstlane_b32 s34, v1
	s_mul_i32 s40, s35, s29
	s_mul_hi_u32 s41, s35, s34
	s_mul_i32 s39, s39, s34
	s_add_i32 s40, s41, s40
	s_mul_i32 s35, s35, s34
	s_add_i32 s40, s40, s39
	s_mul_hi_u32 s41, s29, s35
	s_mul_i32 s42, s29, s35
	s_mul_hi_u32 s35, s34, s35
	s_mul_hi_u32 s43, s34, s40
	s_mul_i32 s34, s34, s40
	s_mul_hi_u32 s39, s29, s40
	s_add_u32 s34, s35, s34
	s_addc_u32 s35, 0, s43
	s_add_u32 s34, s34, s42
	s_mul_i32 s40, s29, s40
	s_addc_u32 s34, s35, s41
	s_addc_u32 s35, s39, 0
	s_add_u32 s34, s34, s40
	s_addc_u32 s35, 0, s35
	v_add_co_u32 v1, s34, v1, s34
	s_cmp_lg_u32 s34, 0
	s_addc_u32 s29, s29, s35
	v_readfirstlane_b32 s34, v1
	s_mul_i32 s39, s22, s29
	s_mul_hi_u32 s35, s22, s29
	s_mul_hi_u32 s40, s23, s29
	s_mul_i32 s29, s23, s29
	s_mul_hi_u32 s41, s22, s34
	s_mul_hi_u32 s42, s23, s34
	s_mul_i32 s34, s23, s34
	s_add_u32 s39, s41, s39
	s_addc_u32 s35, 0, s35
	s_add_u32 s34, s39, s34
	s_addc_u32 s34, s35, s42
	s_addc_u32 s35, s40, 0
	s_add_u32 s34, s34, s29
	s_addc_u32 s35, 0, s35
	s_mul_hi_u32 s29, s30, s34
	s_mul_i32 s40, s30, s35
	s_mul_i32 s41, s30, s34
	s_add_i32 s29, s29, s40
	v_sub_co_u32 v1, s40, s22, s41
	s_mul_i32 s39, s31, s34
	s_add_i32 s29, s29, s39
	v_sub_co_u32 v2, s41, v1, s30
	s_sub_i32 s39, s23, s29
	s_cmp_lg_u32 s40, 0
	s_subb_u32 s39, s39, s31
	s_cmp_lg_u32 s41, 0
	v_readfirstlane_b32 s41, v2
	s_subb_u32 s39, s39, 0
	s_cmp_ge_u32 s39, s31
	s_cselect_b32 s42, -1, 0
	s_cmp_ge_u32 s41, s30
	s_cselect_b32 s41, -1, 0
	s_cmp_eq_u32 s39, s31
	s_cselect_b32 s39, s41, s42
	s_add_u32 s41, s34, 1
	s_addc_u32 s42, s35, 0
	s_add_u32 s43, s34, 2
	s_addc_u32 s44, s35, 0
	s_cmp_lg_u32 s39, 0
	s_cselect_b32 s39, s43, s41
	s_cselect_b32 s41, s44, s42
	s_cmp_lg_u32 s40, 0
	v_readfirstlane_b32 s40, v1
	s_subb_u32 s29, s23, s29
	s_cmp_ge_u32 s29, s31
	s_cselect_b32 s42, -1, 0
	s_cmp_ge_u32 s40, s30
	s_cselect_b32 s40, -1, 0
	s_cmp_eq_u32 s29, s31
	s_cselect_b32 s29, s40, s42
	s_cmp_lg_u32 s29, 0
	s_mov_b32 s29, 0
	s_cselect_b32 s35, s41, s35
	s_cselect_b32 s34, s39, s34
.LBB0_6:                                ;   in Loop: Header=BB0_4 Depth=1
	s_andn2_b32 vcc_lo, exec_lo, s29
	s_cbranch_vccnz .LBB0_8
; %bb.7:                                ;   in Loop: Header=BB0_4 Depth=1
	v_cvt_f32_u32_e32 v1, s30
	s_sub_i32 s34, 0, s30
	v_rcp_iflag_f32_e32 v1, v1
	v_mul_f32_e32 v1, 0x4f7ffffe, v1
	v_cvt_u32_f32_e32 v1, v1
	v_readfirstlane_b32 s29, v1
	s_mul_i32 s34, s34, s29
	s_mul_hi_u32 s34, s29, s34
	s_add_i32 s29, s29, s34
	s_mul_hi_u32 s29, s22, s29
	s_mul_i32 s34, s29, s30
	s_add_i32 s35, s29, 1
	s_sub_i32 s34, s22, s34
	s_sub_i32 s39, s34, s30
	s_cmp_ge_u32 s34, s30
	s_cselect_b32 s29, s35, s29
	s_cselect_b32 s34, s39, s34
	s_add_i32 s35, s29, 1
	s_cmp_ge_u32 s34, s30
	s_cselect_b32 s34, s35, s29
	s_mov_b32 s35, s28
.LBB0_8:                                ;   in Loop: Header=BB0_4 Depth=1
	s_load_dwordx2 s[40:41], s[24:25], 0x0
	s_mul_i32 s21, s30, s21
	s_mul_hi_u32 s29, s30, s20
	s_mul_i32 s39, s31, s20
	s_mul_i32 s31, s34, s31
	s_mul_hi_u32 s42, s34, s30
	s_mul_i32 s43, s35, s30
	s_add_i32 s21, s29, s21
	s_add_i32 s29, s42, s31
	s_mul_i32 s44, s34, s30
	s_add_i32 s21, s21, s39
	s_add_i32 s29, s29, s43
	s_sub_u32 s22, s22, s44
	s_subb_u32 s23, s23, s29
	s_mul_i32 s20, s30, s20
	s_waitcnt lgkmcnt(0)
	s_mul_i32 s23, s40, s23
	s_mul_hi_u32 s29, s40, s22
	s_add_i32 s23, s29, s23
	s_mul_i32 s29, s41, s22
	s_mul_i32 s22, s40, s22
	s_add_i32 s23, s23, s29
	s_add_u32 s38, s22, s38
	s_addc_u32 s33, s23, s33
	s_add_u32 s26, s26, 1
	s_addc_u32 s27, s27, 0
	s_add_u32 s24, s24, 8
	v_cmp_ge_u64_e64 s22, s[26:27], s[10:11]
	s_addc_u32 s25, s25, 0
	s_add_u32 s12, s12, 8
	s_addc_u32 s13, s13, 0
	s_and_b32 vcc_lo, exec_lo, s22
	s_cbranch_vccnz .LBB0_10
; %bb.9:                                ;   in Loop: Header=BB0_4 Depth=1
	s_mov_b64 s[22:23], s[34:35]
	s_branch .LBB0_4
.LBB0_10:
	v_cmp_lt_u64_e64 s7, s[6:7], s[20:21]
	s_mov_b64 s[22:23], 0
	s_and_b32 vcc_lo, exec_lo, s7
	s_cbranch_vccnz .LBB0_12
; %bb.11:
	v_cvt_f32_u32_e32 v1, s20
	s_sub_i32 s12, 0, s20
	v_rcp_iflag_f32_e32 v1, v1
	v_mul_f32_e32 v1, 0x4f7ffffe, v1
	v_cvt_u32_f32_e32 v1, v1
	v_readfirstlane_b32 s7, v1
	s_mul_i32 s12, s12, s7
	s_mul_hi_u32 s12, s7, s12
	s_add_i32 s7, s7, s12
	s_mul_hi_u32 s7, s6, s7
	s_mul_i32 s12, s7, s20
	s_sub_i32 s6, s6, s12
	s_add_i32 s12, s7, 1
	s_sub_i32 s13, s6, s20
	s_cmp_ge_u32 s6, s20
	s_cselect_b32 s7, s12, s7
	s_cselect_b32 s6, s13, s6
	s_add_i32 s12, s7, 1
	s_cmp_ge_u32 s6, s20
	s_cselect_b32 s22, s12, s7
.LBB0_12:
	v_mul_u32_u24_e32 v1, 0x1c72, v0
	s_lshl_b64 s[6:7], s[10:11], 3
	s_add_u32 s6, s14, s6
	s_addc_u32 s7, s15, s7
	v_lshrrev_b32_e32 v3, 16, v1
	s_load_dwordx2 s[6:7], s[6:7], 0x0
	v_lshlrev_b32_e32 v2, 4, v3
	v_mul_lo_u16 v1, v3, 9
	buffer_store_dword v2, off, s[52:55], 0 offset:4 ; 4-byte Folded Spill
	v_add_nc_u32_e32 v2, 16, v3
	v_sub_nc_u16 v1, v0, v1
	buffer_store_dword v2, off, s[52:55], 0 offset:8 ; 4-byte Folded Spill
	v_or_b32_e32 v2, 32, v3
	v_and_b32_e32 v4, 0xffff, v1
	s_waitcnt lgkmcnt(0)
	s_mul_i32 s7, s7, s22
	buffer_store_dword v2, off, s[52:55], 0 offset:80 ; 4-byte Folded Spill
	v_add_nc_u32_e32 v2, 48, v3
	v_add_co_u32 v1, s11, s37, v4
	s_mul_hi_u32 s10, s6, s22
	s_mul_i32 s6, s6, s22
	buffer_store_dword v2, off, s[52:55], 0 offset:76 ; 4-byte Folded Spill
	v_or_b32_e32 v2, 64, v3
	s_add_i32 s10, s10, s7
	s_add_u32 s6, s6, s38
	s_addc_u32 s7, s10, s33
	s_add_u32 s10, s37, 9
	buffer_store_dword v2, off, s[52:55], 0 offset:72 ; 4-byte Folded Spill
	v_add_nc_u32_e32 v2, 0x50, v3
	buffer_store_dword v4, off, s[52:55], 0 offset:12 ; 4-byte Folded Spill
	v_mul_u32_u24_e32 v4, 0xd00, v4
	buffer_store_dword v2, off, s[52:55], 0 offset:68 ; 4-byte Folded Spill
	v_or_b32_e32 v2, 0x60, v3
	buffer_store_dword v4, off, s[52:55], 0 offset:16 ; 4-byte Folded Spill
	buffer_store_dword v2, off, s[52:55], 0 offset:64 ; 4-byte Folded Spill
	v_add_nc_u32_e32 v2, 0x70, v3
	buffer_store_dword v2, off, s[52:55], 0 offset:60 ; 4-byte Folded Spill
	v_or_b32_e32 v2, 0x80, v3
	buffer_store_dword v2, off, s[52:55], 0 offset:56 ; 4-byte Folded Spill
	v_add_co_ci_u32_e64 v2, null, s36, 0, s11
	s_addc_u32 s11, s36, 0
	v_cmp_le_u64_e64 s10, s[10:11], s[18:19]
	v_cmp_gt_u64_e32 vcc_lo, s[18:19], v[1:2]
	v_add_nc_u32_e32 v1, 0x90, v3
	buffer_store_dword v1, off, s[52:55], 0 offset:52 ; 4-byte Folded Spill
	v_or_b32_e32 v1, 0xa0, v3
	s_or_b32 s33, s10, vcc_lo
	buffer_store_dword v1, off, s[52:55], 0 offset:44 ; 4-byte Folded Spill
	v_add_nc_u32_e32 v1, 0xb0, v3
	buffer_store_dword v1, off, s[52:55], 0 offset:48 ; 4-byte Folded Spill
	buffer_store_dword v3, off, s[52:55], 0 ; 4-byte Folded Spill
	v_or_b32_e32 v1, 0xc0, v3
	buffer_store_dword v1, off, s[52:55], 0 offset:40 ; 4-byte Folded Spill
	s_and_saveexec_b32 s10, s33
	s_cbranch_execz .LBB0_14
; %bb.13:
	s_clause 0x2
	buffer_load_dword v29, off, s[52:55], 0
	buffer_load_dword v12, off, s[52:55], 0 offset:8
	buffer_load_dword v9, off, s[52:55], 0 offset:12
	s_lshl_b64 s[12:13], s[6:7], 4
	s_add_u32 s11, s4, s12
	s_addc_u32 s12, s5, s13
	s_waitcnt vmcnt(2)
	v_or_b32_e32 v13, 32, v29
	v_mad_u64_u32 v[3:4], null, s0, v29, 0
	s_waitcnt vmcnt(0)
	v_mad_u64_u32 v[1:2], null, s2, v9, 0
	v_mad_u64_u32 v[7:8], null, s0, v13, 0
	;; [unrolled: 1-line block ×3, first 2 shown]
	v_add_nc_u32_e32 v31, 48, v29
	v_or_b32_e32 v33, 64, v29
	v_mad_u64_u32 v[9:10], null, s3, v9, v[2:3]
	v_mov_b32_e32 v2, v8
	v_add_nc_u32_e32 v34, 0x50, v29
	v_mad_u64_u32 v[10:11], null, s1, v29, v[4:5]
	v_mad_u64_u32 v[11:12], null, s1, v12, v[6:7]
	;; [unrolled: 1-line block ×4, first 2 shown]
	v_or_b32_e32 v35, 0x60, v29
	v_or_b32_e32 v41, 0x80, v29
	v_mov_b32_e32 v6, v11
	v_add_nc_u32_e32 v36, 0x70, v29
	v_mov_b32_e32 v8, v12
	v_mad_u64_u32 v[11:12], null, s0, v31, 0
	v_add_nc_u32_e32 v40, 0x90, v29
	v_mov_b32_e32 v2, v9
	v_mad_u64_u32 v[15:16], null, s0, v34, 0
	v_mad_u64_u32 v[17:18], null, s0, v35, 0
	;; [unrolled: 1-line block ×3, first 2 shown]
	v_or_b32_e32 v39, 0xc0, v29
	v_mad_u64_u32 v[19:20], null, s0, v36, 0
	v_mad_u64_u32 v[23:24], null, s0, v40, 0
	v_mov_b32_e32 v4, v10
	v_lshlrev_b64 v[1:2], 4, v[1:2]
	v_or_b32_e32 v37, 0xa0, v29
	v_add_nc_u32_e32 v38, 0xb0, v29
	v_mad_u64_u32 v[31:32], null, s1, v31, v[12:13]
	v_mad_u64_u32 v[29:30], null, s0, v39, 0
	;; [unrolled: 1-line block ×3, first 2 shown]
	v_lshlrev_b64 v[3:4], 4, v[3:4]
	v_mad_u64_u32 v[25:26], null, s0, v37, 0
	v_add_co_u32 v49, vcc_lo, s11, v1
	v_mad_u64_u32 v[27:28], null, s0, v38, 0
	v_mad_u64_u32 v[33:34], null, s1, v34, v[16:17]
	v_mov_b32_e32 v16, v22
	v_mad_u64_u32 v[34:35], null, s1, v35, v[18:19]
	v_mov_b32_e32 v18, v24
	v_add_co_ci_u32_e32 v50, vcc_lo, s12, v2, vcc_lo
	v_lshlrev_b64 v[1:2], 4, v[5:6]
	v_mov_b32_e32 v12, v31
	v_add_co_u32 v3, vcc_lo, v49, v3
	v_lshlrev_b64 v[5:6], 4, v[7:8]
	v_mov_b32_e32 v24, v30
	v_mad_u64_u32 v[30:31], null, s1, v41, v[16:17]
	v_mov_b32_e32 v14, v32
	v_mad_u64_u32 v[31:32], null, s1, v40, v[18:19]
	v_add_co_ci_u32_e32 v4, vcc_lo, v50, v4, vcc_lo
	v_mad_u64_u32 v[35:36], null, s1, v36, v[20:21]
	v_mov_b32_e32 v20, v26
	v_add_co_u32 v7, vcc_lo, v49, v1
	v_mov_b32_e32 v22, v28
	v_lshlrev_b64 v[11:12], 4, v[11:12]
	v_mov_b32_e32 v16, v33
	v_add_co_ci_u32_e32 v8, vcc_lo, v50, v2, vcc_lo
	v_add_co_u32 v9, vcc_lo, v49, v5
	v_lshlrev_b64 v[13:14], 4, v[13:14]
	v_mad_u64_u32 v[36:37], null, s1, v37, v[20:21]
	v_mov_b32_e32 v18, v34
	v_add_co_ci_u32_e32 v10, vcc_lo, v50, v6, vcc_lo
	v_mad_u64_u32 v[37:38], null, s1, v38, v[22:23]
	v_mad_u64_u32 v[38:39], null, s1, v39, v[24:25]
	v_mov_b32_e32 v24, v31
	v_lshlrev_b64 v[15:16], 4, v[15:16]
	v_add_co_u32 v31, vcc_lo, v49, v11
	v_mov_b32_e32 v20, v35
	v_add_co_ci_u32_e32 v32, vcc_lo, v50, v12, vcc_lo
	v_lshlrev_b64 v[17:18], 4, v[17:18]
	v_add_co_u32 v33, vcc_lo, v49, v13
	v_mov_b32_e32 v22, v30
	v_add_co_ci_u32_e32 v34, vcc_lo, v50, v14, vcc_lo
	;; [unrolled: 4-line block ×3, first 2 shown]
	v_mov_b32_e32 v28, v37
	v_lshlrev_b64 v[21:22], 4, v[21:22]
	v_add_co_u32 v37, vcc_lo, v49, v17
	v_mov_b32_e32 v30, v38
	v_add_co_ci_u32_e32 v38, vcc_lo, v50, v18, vcc_lo
	v_lshlrev_b64 v[23:24], 4, v[23:24]
	v_add_co_u32 v39, vcc_lo, v49, v19
	v_add_co_ci_u32_e32 v40, vcc_lo, v50, v20, vcc_lo
	v_lshlrev_b64 v[25:26], 4, v[25:26]
	v_add_co_u32 v41, vcc_lo, v49, v21
	;; [unrolled: 3-line block ×4, first 2 shown]
	v_add_co_ci_u32_e32 v46, vcc_lo, v50, v26, vcc_lo
	v_add_co_u32 v47, vcc_lo, v49, v27
	v_add_co_ci_u32_e32 v48, vcc_lo, v50, v28, vcc_lo
	v_add_co_u32 v49, vcc_lo, v49, v29
	v_add_co_ci_u32_e32 v50, vcc_lo, v50, v30, vcc_lo
	s_clause 0xc
	global_load_dwordx4 v[1:4], v[3:4], off
	global_load_dwordx4 v[5:8], v[7:8], off
	;; [unrolled: 1-line block ×13, first 2 shown]
	s_clause 0x1
	buffer_load_dword v53, off, s[52:55], 0 offset:4
	buffer_load_dword v54, off, s[52:55], 0 offset:16
	s_waitcnt vmcnt(0)
	v_add3_u32 v53, 0, v54, v53
	ds_write_b128 v53, v[1:4]
	ds_write_b128 v53, v[5:8] offset:256
	ds_write_b128 v53, v[9:12] offset:512
	;; [unrolled: 1-line block ×12, first 2 shown]
.LBB0_14:
	s_or_b32 exec_lo, exec_lo, s10
	s_add_u32 s10, 0, 0x71c4fc00
	s_addc_u32 s11, 0, 0x7c
	s_mul_hi_u32 s13, s10, -9
	s_add_i32 s11, s11, 0x1c71c6a0
	s_sub_i32 s13, s13, s10
	s_mul_i32 s14, s11, -9
	s_mul_i32 s12, s10, -9
	s_add_i32 s13, s13, s14
	s_mul_hi_u32 s15, s11, s12
	s_mul_i32 s14, s11, s12
	s_mul_i32 s18, s10, s13
	s_mul_hi_u32 s12, s10, s12
	s_mul_hi_u32 s19, s10, s13
	s_add_u32 s12, s12, s18
	s_addc_u32 s18, 0, s19
	s_mul_hi_u32 s19, s11, s13
	s_add_u32 s12, s12, s14
	s_addc_u32 s12, s18, s15
	s_mul_i32 s13, s11, s13
	v_lshrrev_b32_e32 v1, 4, v0
	s_addc_u32 s14, s19, 0
	s_add_u32 s12, s12, s13
	v_and_b32_e32 v71, 15, v0
	v_add_co_u32 v3, s10, s10, s12
	s_addc_u32 s12, 0, s14
	s_cmp_lg_u32 s10, 0
	v_add_co_u32 v70, s10, s37, v1
	v_add_co_ci_u32_e64 v5, null, s36, 0, s10
	s_addc_u32 s10, s11, s12
	v_mul_hi_u32 v6, v70, v3
	v_mad_u64_u32 v[1:2], null, v70, s10, 0
	v_mad_u64_u32 v[3:4], null, v5, v3, 0
	s_waitcnt lgkmcnt(0)
	s_waitcnt_vscnt null, 0x0
	s_barrier
	buffer_gl0_inv
	s_mov_b32 s30, 0x4267c47c
	v_add_co_u32 v6, vcc_lo, v6, v1
	v_add_co_ci_u32_e32 v7, vcc_lo, 0, v2, vcc_lo
	v_mad_u64_u32 v[1:2], null, v5, s10, 0
	v_add_co_u32 v3, vcc_lo, v6, v3
	v_add_co_ci_u32_e32 v3, vcc_lo, v7, v4, vcc_lo
	s_mov_b32 s24, 0x42a4c3d2
	s_mov_b32 s31, 0xbfddbe06
	v_add_co_ci_u32_e32 v2, vcc_lo, 0, v2, vcc_lo
	v_add_co_u32 v1, vcc_lo, v3, v1
	s_mov_b32 s25, 0xbfea55e2
	v_add_co_ci_u32_e32 v3, vcc_lo, 0, v2, vcc_lo
	v_mad_u64_u32 v[1:2], null, v1, 9, 0
	s_mov_b32 s14, 0x2ef20147
	s_mov_b32 s40, 0xe00740e9
	;; [unrolled: 1-line block ×6, first 2 shown]
	v_mad_u64_u32 v[2:3], null, v3, 9, v[2:3]
	v_sub_co_u32 v0, vcc_lo, v70, v1
	s_mov_b32 s18, 0x66966769
	s_mov_b32 s10, 0x4bc48dbf
	;; [unrolled: 1-line block ×4, first 2 shown]
	v_sub_co_ci_u32_e32 v2, vcc_lo, v5, v2, vcc_lo
	v_sub_co_u32 v1, vcc_lo, v0, 9
	s_mov_b32 s11, 0xbfcea1e5
	v_subrev_co_ci_u32_e32 v5, vcc_lo, 0, v2, vcc_lo
	v_cmp_lt_u32_e32 vcc_lo, 8, v1
	v_add_nc_u32_e32 v3, -9, v1
	s_mov_b32 s27, 0xbfd6b1d8
	s_mov_b32 s45, 0x3fddbe06
	;; [unrolled: 1-line block ×3, first 2 shown]
	v_cndmask_b32_e64 v6, 0, -1, vcc_lo
	v_cmp_lt_u32_e32 vcc_lo, 8, v0
	s_mov_b32 s12, 0x24c2f84
	s_mov_b32 s20, 0xebaa3ed8
	;; [unrolled: 1-line block ×4, first 2 shown]
	v_cndmask_b32_e64 v4, 0, -1, vcc_lo
	v_cmp_eq_u32_e32 vcc_lo, 0, v5
	s_mov_b32 s21, 0x3fbedb7d
	s_mov_b32 s23, 0xbfef11f4
	;; [unrolled: 1-line block ×4, first 2 shown]
	v_cndmask_b32_e32 v5, -1, v6, vcc_lo
	v_cmp_eq_u32_e32 vcc_lo, 0, v2
	s_mov_b32 s34, s24
	s_mov_b32 s48, s12
	;; [unrolled: 1-line block ×4, first 2 shown]
	v_cndmask_b32_e32 v2, -1, v4, vcc_lo
	v_cmp_ne_u32_e32 vcc_lo, 0, v5
	s_mov_b32 s39, 0x3fefc445
	s_mov_b32 s43, 0x3fedeba7
	;; [unrolled: 1-line block ×4, first 2 shown]
	v_cndmask_b32_e32 v1, v1, v3, vcc_lo
	v_cmp_ne_u32_e32 vcc_lo, 0, v2
	s_mov_b32 s47, 0x3fcea1e5
	s_mov_b32 s46, s10
	v_cndmask_b32_e32 v0, v0, v1, vcc_lo
	v_lshlrev_b32_e32 v1, 4, v71
	v_cmp_gt_u32_e32 vcc_lo, 13, v71
	v_mul_u32_u24_e32 v0, 0xd0, v0
	v_lshlrev_b32_e32 v0, 4, v0
	v_add_nc_u32_e32 v72, 0, v0
	v_add3_u32 v68, 0, v1, v0
	v_add_nc_u32_e32 v2, v72, v1
	buffer_store_dword v2, off, s[52:55], 0 offset:20 ; 4-byte Folded Spill
	ds_read_b128 v[0:3], v2
	ds_read_b128 v[8:11], v68 offset:256
	ds_read_b128 v[73:76], v68 offset:1024
	;; [unrolled: 1-line block ×12, first 2 shown]
	s_waitcnt lgkmcnt(0)
	s_waitcnt_vscnt null, 0x0
	s_barrier
	buffer_gl0_inv
	v_add_f64 v[4:5], v[0:1], v[8:9]
	v_add_f64 v[40:41], v[2:3], v[10:11]
	;; [unrolled: 1-line block ×4, first 2 shown]
	v_add_f64 v[24:25], v[73:74], -v[81:82]
	v_add_f64 v[113:114], v[32:33], -v[91:92]
	;; [unrolled: 1-line block ×3, first 2 shown]
	v_add_f64 v[119:120], v[8:9], v[109:110]
	v_add_f64 v[10:11], v[10:11], v[111:112]
	;; [unrolled: 1-line block ×3, first 2 shown]
	v_add_f64 v[64:65], v[95:96], -v[87:88]
	v_add_f64 v[48:49], v[30:31], v[89:90]
	v_add_f64 v[8:9], v[8:9], -v[109:110]
	v_add_f64 v[36:37], v[75:76], -v[83:84]
	v_add_f64 v[62:63], v[95:96], v[87:88]
	v_add_f64 v[50:51], v[30:31], -v[89:90]
	v_add_f64 v[34:35], v[75:76], v[83:84]
	v_add_f64 v[14:15], v[97:98], v[77:78]
	;; [unrolled: 1-line block ×3, first 2 shown]
	v_add_f64 v[28:29], v[99:100], -v[79:80]
	v_add_f64 v[16:17], v[97:98], -v[77:78]
	;; [unrolled: 1-line block ×3, first 2 shown]
	v_add_f64 v[4:5], v[4:5], v[30:31]
	v_add_f64 v[115:116], v[40:41], v[32:33]
	v_add_f64 v[40:41], v[93:94], -v[85:86]
	v_add_f64 v[18:19], v[103:104], v[107:108]
	v_add_f64 v[6:7], v[101:102], v[105:106]
	v_mul_f64 v[58:59], v[113:114], s[24:25]
	v_mul_f64 v[173:174], v[117:118], s[30:31]
	;; [unrolled: 1-line block ×17, first 2 shown]
	v_add_f64 v[4:5], v[4:5], v[93:94]
	v_add_f64 v[93:94], v[115:116], v[95:96]
	v_mul_f64 v[115:116], v[36:37], s[48:49]
	v_mul_f64 v[95:96], v[62:63], s[22:23]
	;; [unrolled: 1-line block ×3, first 2 shown]
	v_fma_f64 v[193:194], v[48:49], s[28:29], v[58:59]
	v_fma_f64 v[225:226], v[119:120], s[40:41], v[173:174]
	v_fma_f64 v[229:230], v[119:120], s[28:29], v[175:176]
	v_fma_f64 v[209:210], v[48:49], s[26:27], v[121:122]
	v_fma_f64 v[227:228], v[8:9], s[44:45], v[183:184]
	v_fma_f64 v[175:176], v[119:120], s[28:29], -v[175:176]
	v_fma_f64 v[121:122], v[48:49], s[26:27], -v[121:122]
	v_fma_f64 v[213:214], v[38:39], s[22:23], v[125:126]
	v_fma_f64 v[245:246], v[119:120], s[20:21], v[177:178]
	;; [unrolled: 1-line block ×4, first 2 shown]
	v_mul_f64 v[141:142], v[64:65], s[42:43]
	v_mul_f64 v[159:160], v[66:67], s[36:37]
	;; [unrolled: 1-line block ×5, first 2 shown]
	v_fma_f64 v[195:196], v[40:41], s[38:39], v[56:57]
	v_add_f64 v[4:5], v[4:5], v[73:74]
	v_add_f64 v[73:74], v[93:94], v[75:76]
	v_fma_f64 v[211:212], v[50:51], s[42:43], v[123:124]
	v_fma_f64 v[217:218], v[22:23], s[36:37], v[115:116]
	;; [unrolled: 1-line block ×3, first 2 shown]
	v_fma_f64 v[125:126], v[38:39], s[22:23], -v[125:126]
	v_add_f64 v[225:226], v[0:1], v[225:226]
	v_add_f64 v[229:230], v[0:1], v[229:230]
	v_fma_f64 v[233:234], v[48:49], s[22:23], v[137:138]
	v_add_f64 v[227:228], v[2:3], v[227:228]
	v_add_f64 v[175:176], v[0:1], v[175:176]
	v_fma_f64 v[247:248], v[8:9], s[38:39], v[187:188]
	v_fma_f64 v[177:178], v[119:120], s[20:21], -v[177:178]
	v_fma_f64 v[187:188], v[8:9], s[18:19], v[187:188]
	v_add_f64 v[231:232], v[2:3], v[231:232]
	v_add_f64 v[185:186], v[2:3], v[185:186]
	;; [unrolled: 1-line block ×3, first 2 shown]
	v_mul_f64 v[44:45], v[26:27], s[36:37]
	v_mul_f64 v[127:128], v[34:35], s[36:37]
	;; [unrolled: 1-line block ×5, first 2 shown]
	v_add_f64 v[4:5], v[4:5], v[97:98]
	v_add_f64 v[73:74], v[73:74], v[99:100]
	v_fma_f64 v[97:98], v[50:51], s[34:35], v[60:61]
	v_fma_f64 v[99:100], v[38:39], s[20:21], v[54:55]
	v_mul_f64 v[157:158], v[113:114], s[48:49]
	v_mul_f64 v[191:192], v[10:11], s[36:37]
	v_add_f64 v[193:194], v[193:194], v[225:226]
	v_add_f64 v[209:210], v[209:210], v[229:230]
	v_mul_f64 v[10:11], v[10:11], s[22:23]
	v_fma_f64 v[199:200], v[24:25], s[42:43], v[52:53]
	v_add_f64 v[121:122], v[121:122], v[175:176]
	v_fma_f64 v[175:176], v[8:9], s[42:43], v[189:190]
	v_fma_f64 v[215:216], v[40:41], s[46:47], v[95:96]
	;; [unrolled: 1-line block ×4, first 2 shown]
	v_fma_f64 v[115:116], v[22:23], s[36:37], -v[115:116]
	v_fma_f64 v[235:236], v[50:51], s[46:47], v[139:140]
	v_fma_f64 v[237:238], v[38:39], s[26:27], v[141:142]
	v_fma_f64 v[137:138], v[48:49], s[22:23], -v[137:138]
	v_fma_f64 v[139:140], v[50:51], s[10:11], v[139:140]
	v_add_f64 v[211:212], v[211:212], v[231:232]
	v_fma_f64 v[231:232], v[119:120], s[26:27], v[179:180]
	v_add_f64 v[4:5], v[4:5], v[101:102]
	v_add_f64 v[73:74], v[73:74], v[103:104]
	;; [unrolled: 1-line block ×4, first 2 shown]
	v_fma_f64 v[173:174], v[119:120], s[40:41], -v[173:174]
	v_add_f64 v[123:124], v[123:124], v[185:186]
	v_add_f64 v[99:100], v[99:100], v[193:194]
	;; [unrolled: 1-line block ×4, first 2 shown]
	v_add_f64 v[12:13], v[101:102], -v[105:106]
	v_add_f64 v[121:122], v[125:126], v[121:122]
	v_add_f64 v[175:176], v[2:3], v[175:176]
	v_mul_f64 v[46:47], v[36:37], s[14:15]
	v_mul_f64 v[32:33], v[18:19], s[22:23]
	;; [unrolled: 1-line block ×9, first 2 shown]
	v_fma_f64 v[203:204], v[16:17], s[48:49], v[44:45]
	v_add_f64 v[4:5], v[4:5], v[105:106]
	v_add_f64 v[73:74], v[73:74], v[107:108]
	;; [unrolled: 1-line block ×4, first 2 shown]
	v_fma_f64 v[219:220], v[24:25], s[12:13], v[127:128]
	v_fma_f64 v[101:102], v[6:7], s[40:41], v[133:134]
	;; [unrolled: 1-line block ×3, first 2 shown]
	v_add_f64 v[125:126], v[217:218], v[193:194]
	v_fma_f64 v[239:240], v[40:41], s[14:15], v[143:144]
	v_fma_f64 v[241:242], v[22:23], s[40:41], v[145:146]
	v_fma_f64 v[141:142], v[38:39], s[26:27], -v[141:142]
	v_fma_f64 v[143:144], v[40:41], s[42:43], v[143:144]
	v_fma_f64 v[249:250], v[48:49], s[36:37], v[157:158]
	v_fma_f64 v[157:158], v[48:49], s[36:37], -v[157:158]
	v_fma_f64 v[183:184], v[8:9], s[30:31], v[183:184]
	v_fma_f64 v[185:186], v[8:9], s[48:49], v[191:192]
	v_add_f64 v[137:138], v[137:138], v[177:178]
	v_add_f64 v[177:178], v[215:216], v[211:212]
	;; [unrolled: 1-line block ×4, first 2 shown]
	v_mul_f64 v[42:43], v[28:29], s[12:13]
	v_mul_f64 v[93:94], v[36:37], s[18:19]
	v_add_f64 v[4:5], v[4:5], v[77:78]
	v_add_f64 v[73:74], v[73:74], v[79:80]
	v_fma_f64 v[77:78], v[50:51], s[12:13], v[159:160]
	v_fma_f64 v[159:160], v[50:51], s[48:49], v[159:160]
	v_add_f64 v[97:98], v[199:200], v[97:98]
	v_mul_f64 v[163:164], v[34:35], s[20:21]
	v_fma_f64 v[197:198], v[22:23], s[26:27], v[46:47]
	v_add_f64 v[121:122], v[221:222], v[125:126]
	v_fma_f64 v[207:208], v[12:13], s[46:47], v[32:33]
	v_fma_f64 v[223:224], v[16:17], s[18:19], v[131:132]
	;; [unrolled: 1-line block ×5, first 2 shown]
	v_fma_f64 v[145:146], v[22:23], s[40:41], -v[145:146]
	v_fma_f64 v[147:148], v[24:25], s[44:45], v[147:148]
	v_fma_f64 v[225:226], v[40:41], s[30:31], v[75:76]
	v_add_f64 v[247:248], v[2:3], v[247:248]
	v_add_f64 v[137:138], v[141:142], v[137:138]
	;; [unrolled: 1-line block ×4, first 2 shown]
	v_fma_f64 v[75:76], v[40:41], s[44:45], v[75:76]
	v_mul_f64 v[113:114], v[113:114], s[44:45]
	v_add_f64 v[4:5], v[4:5], v[81:82]
	v_add_f64 v[73:74], v[73:74], v[83:84]
	v_fma_f64 v[81:82], v[119:120], s[26:27], -v[179:180]
	v_fma_f64 v[83:84], v[119:120], s[36:37], v[181:182]
	v_fma_f64 v[179:180], v[119:120], s[36:37], -v[181:182]
	v_fma_f64 v[181:182], v[119:120], s[22:23], v[117:118]
	;; [unrolled: 2-line block ×3, first 2 shown]
	v_add_f64 v[77:78], v[77:78], v[175:176]
	v_add_f64 v[175:176], v[237:238], v[195:196]
	;; [unrolled: 1-line block ×4, first 2 shown]
	v_mul_f64 v[66:67], v[66:67], s[40:41]
	v_mul_f64 v[30:31], v[20:21], s[10:11]
	;; [unrolled: 1-line block ×3, first 2 shown]
	v_fma_f64 v[201:202], v[14:15], s[36:37], v[42:43]
	v_fma_f64 v[129:130], v[14:15], s[20:21], -v[129:130]
	v_fma_f64 v[149:150], v[14:15], s[28:29], -v[149:150]
	v_fma_f64 v[79:80], v[38:39], s[40:41], v[161:162]
	v_fma_f64 v[227:228], v[22:23], s[20:21], v[93:94]
	v_add_f64 v[99:100], v[197:198], v[99:100]
	v_add_f64 v[137:138], v[145:146], v[137:138]
	v_add_f64 v[4:5], v[4:5], v[85:86]
	v_add_f64 v[73:74], v[73:74], v[87:88]
	v_fma_f64 v[85:86], v[8:9], s[12:13], v[191:192]
	v_fma_f64 v[87:88], v[8:9], s[46:47], v[10:11]
	;; [unrolled: 1-line block ×3, first 2 shown]
	v_add_f64 v[10:11], v[95:96], v[123:124]
	v_add_f64 v[81:82], v[0:1], v[81:82]
	;; [unrolled: 1-line block ×11, first 2 shown]
	v_fma_f64 v[145:146], v[48:49], s[40:41], v[113:114]
	v_fma_f64 v[113:114], v[48:49], s[40:41], -v[113:114]
	v_mul_f64 v[165:166], v[28:29], s[46:47]
	v_mul_f64 v[167:168], v[26:27], s[22:23]
	v_fma_f64 v[205:206], v[6:7], s[22:23], v[30:31]
	v_fma_f64 v[243:244], v[16:17], s[34:35], v[151:152]
	v_add_f64 v[89:90], v[4:5], v[89:90]
	v_add_f64 v[73:74], v[73:74], v[91:92]
	;; [unrolled: 1-line block ×9, first 2 shown]
	v_fma_f64 v[101:102], v[48:49], s[20:21], v[169:170]
	v_add_f64 v[10:11], v[207:208], v[97:98]
	v_fma_f64 v[229:230], v[24:25], s[38:39], v[163:164]
	v_add_f64 v[209:210], v[235:236], v[247:248]
	v_add_f64 v[99:100], v[201:202], v[99:100]
	;; [unrolled: 1-line block ×3, first 2 shown]
	v_fma_f64 v[143:144], v[50:51], s[38:39], v[171:172]
	v_add_f64 v[79:80], v[79:80], v[173:174]
	v_add_f64 v[77:78], v[225:226], v[77:78]
	;; [unrolled: 1-line block ×3, first 2 shown]
	v_fma_f64 v[129:130], v[16:17], s[24:25], v[151:152]
	v_add_f64 v[137:138], v[149:150], v[137:138]
	v_mul_f64 v[149:150], v[36:37], s[46:47]
	v_add_f64 v[0:1], v[89:90], v[109:110]
	v_add_f64 v[2:3], v[73:74], v[111:112]
	;; [unrolled: 1-line block ×3, first 2 shown]
	v_fma_f64 v[89:90], v[38:39], s[40:41], -v[161:162]
	v_fma_f64 v[109:110], v[50:51], s[18:19], v[171:172]
	v_mul_f64 v[111:112], v[64:65], s[24:25]
	v_mul_f64 v[119:120], v[62:63], s[28:29]
	v_add_f64 v[97:98], v[131:132], v[127:128]
	v_add_f64 v[127:128], v[147:148], v[139:140]
	;; [unrolled: 1-line block ×3, first 2 shown]
	v_fma_f64 v[147:148], v[50:51], s[30:31], v[66:67]
	v_mul_f64 v[64:65], v[64:65], s[12:13]
	v_mul_f64 v[62:63], v[62:63], s[36:37]
	v_fma_f64 v[66:67], v[50:51], s[44:45], v[66:67]
	v_fma_f64 v[50:51], v[50:51], s[24:25], v[60:61]
	v_mul_f64 v[151:152], v[34:35], s[22:23]
	v_mul_f64 v[36:37], v[36:37], s[34:35]
	;; [unrolled: 1-line block ×3, first 2 shown]
	v_add_f64 v[183:184], v[239:240], v[209:210]
	v_add_f64 v[8:9], v[205:206], v[99:100]
	v_fma_f64 v[99:100], v[6:7], s[40:41], -v[133:134]
	v_add_f64 v[79:80], v[227:228], v[79:80]
	v_add_f64 v[77:78], v[229:230], v[77:78]
	v_fma_f64 v[131:132], v[14:15], s[22:23], v[165:166]
	v_add_f64 v[73:74], v[75:76], v[73:74]
	v_add_f64 v[81:82], v[89:90], v[81:82]
	v_fma_f64 v[75:76], v[22:23], s[20:21], -v[93:94]
	v_fma_f64 v[89:90], v[24:25], s[18:19], v[163:164]
	v_add_f64 v[91:92], v[109:110], v[91:92]
	v_fma_f64 v[93:94], v[38:39], s[28:29], v[111:112]
	v_fma_f64 v[101:102], v[40:41], s[34:35], v[119:120]
	v_fma_f64 v[109:110], v[48:49], s[20:21], -v[169:170]
	v_fma_f64 v[48:49], v[48:49], s[28:29], -v[58:59]
	v_add_f64 v[87:88], v[147:148], v[87:88]
	v_fma_f64 v[133:134], v[16:17], s[10:11], v[167:168]
	v_add_f64 v[66:67], v[66:67], v[179:180]
	v_add_f64 v[50:51], v[50:51], v[123:124]
	v_mul_f64 v[135:136], v[18:19], s[40:41]
	v_mul_f64 v[153:154], v[20:21], s[12:13]
	;; [unrolled: 1-line block ×3, first 2 shown]
	v_add_f64 v[105:106], v[105:106], v[183:184]
	v_add_f64 v[141:142], v[223:224], v[141:142]
	;; [unrolled: 1-line block ×4, first 2 shown]
	v_mul_f64 v[131:132], v[20:21], s[34:35]
	v_add_f64 v[75:76], v[75:76], v[81:82]
	v_add_f64 v[58:59], v[89:90], v[73:74]
	v_fma_f64 v[89:90], v[40:41], s[24:25], v[119:120]
	v_add_f64 v[60:61], v[93:94], v[83:84]
	v_add_f64 v[73:74], v[101:102], v[91:92]
	;; [unrolled: 1-line block ×4, first 2 shown]
	v_fma_f64 v[85:86], v[38:39], s[28:29], -v[111:112]
	v_add_f64 v[91:92], v[145:146], v[177:178]
	v_fma_f64 v[93:94], v[38:39], s[36:37], v[64:65]
	v_fma_f64 v[101:102], v[40:41], s[48:49], v[62:63]
	v_add_f64 v[109:110], v[113:114], v[117:118]
	v_fma_f64 v[64:65], v[38:39], s[36:37], -v[64:65]
	v_fma_f64 v[62:63], v[40:41], s[12:13], v[62:63]
	v_add_f64 v[48:49], v[48:49], v[95:96]
	v_fma_f64 v[38:39], v[38:39], s[20:21], -v[54:55]
	v_fma_f64 v[40:41], v[40:41], s[18:19], v[56:57]
	v_fma_f64 v[111:112], v[22:23], s[22:23], v[149:150]
	;; [unrolled: 1-line block ×3, first 2 shown]
	v_mul_f64 v[117:118], v[28:29], s[44:45]
	v_mul_f64 v[95:96], v[26:27], s[40:41]
	;; [unrolled: 1-line block ×4, first 2 shown]
	v_add_f64 v[77:78], v[133:134], v[77:78]
	v_mul_f64 v[133:134], v[18:19], s[28:29]
	v_fma_f64 v[54:55], v[14:15], s[22:23], -v[165:166]
	v_fma_f64 v[56:57], v[16:17], s[46:47], v[167:168]
	v_fma_f64 v[103:104], v[12:13], s[30:31], v[135:136]
	v_add_f64 v[83:84], v[89:90], v[83:84]
	v_add_f64 v[81:82], v[85:86], v[81:82]
	v_fma_f64 v[85:86], v[22:23], s[22:23], -v[149:150]
	v_fma_f64 v[89:90], v[24:25], s[46:47], v[151:152]
	v_add_f64 v[91:92], v[93:94], v[91:92]
	v_add_f64 v[87:88], v[101:102], v[87:88]
	v_fma_f64 v[93:94], v[22:23], s[28:29], v[36:37]
	v_fma_f64 v[101:102], v[24:25], s[24:25], v[34:35]
	v_add_f64 v[64:65], v[64:65], v[109:110]
	v_add_f64 v[62:63], v[62:63], v[66:67]
	v_fma_f64 v[36:37], v[22:23], s[28:29], -v[36:37]
	v_fma_f64 v[34:35], v[24:25], s[34:35], v[34:35]
	v_add_f64 v[38:39], v[38:39], v[48:49]
	v_add_f64 v[40:41], v[40:41], v[50:51]
	v_fma_f64 v[22:23], v[22:23], s[26:27], -v[46:47]
	v_fma_f64 v[24:25], v[24:25], s[14:15], v[52:53]
	v_add_f64 v[60:61], v[111:112], v[60:61]
	v_add_f64 v[66:67], v[113:114], v[73:74]
	v_fma_f64 v[73:74], v[14:15], s[40:41], v[117:118]
	v_fma_f64 v[46:47], v[16:17], s[30:31], v[95:96]
	v_mul_f64 v[48:49], v[20:21], s[14:15]
	v_mul_f64 v[50:51], v[18:19], s[26:27]
	;; [unrolled: 1-line block ×4, first 2 shown]
	v_add_f64 v[52:53], v[85:86], v[81:82]
	v_add_f64 v[81:82], v[89:90], v[83:84]
	v_fma_f64 v[83:84], v[14:15], s[40:41], -v[117:118]
	v_fma_f64 v[85:86], v[16:17], s[44:45], v[95:96]
	v_add_f64 v[89:90], v[93:94], v[91:92]
	v_add_f64 v[87:88], v[101:102], v[87:88]
	v_fma_f64 v[91:92], v[14:15], s[26:27], v[28:29]
	v_fma_f64 v[93:94], v[16:17], s[42:43], v[26:27]
	v_add_f64 v[36:37], v[36:37], v[64:65]
	v_add_f64 v[34:35], v[34:35], v[62:63]
	v_fma_f64 v[28:29], v[14:15], s[26:27], -v[28:29]
	v_fma_f64 v[26:27], v[16:17], s[14:15], v[26:27]
	v_add_f64 v[22:23], v[22:23], v[38:39]
	v_add_f64 v[24:25], v[24:25], v[40:41]
	v_fma_f64 v[14:15], v[14:15], s[36:37], -v[42:43]
	v_fma_f64 v[16:17], v[16:17], s[12:13], v[44:45]
	v_fma_f64 v[121:122], v[12:13], s[44:45], v[135:136]
	v_add_f64 v[105:106], v[243:244], v[105:106]
	v_fma_f64 v[135:136], v[6:7], s[36:37], v[153:154]
	v_fma_f64 v[139:140], v[12:13], s[48:49], v[155:156]
	v_fma_f64 v[129:130], v[6:7], s[36:37], -v[153:154]
	v_fma_f64 v[62:63], v[6:7], s[28:29], v[131:132]
	v_fma_f64 v[64:65], v[12:13], s[24:25], v[133:134]
	v_add_f64 v[54:55], v[54:55], v[75:76]
	v_add_f64 v[38:39], v[56:57], v[58:59]
	v_fma_f64 v[40:41], v[6:7], s[28:29], -v[131:132]
	v_add_f64 v[42:43], v[73:74], v[60:61]
	v_add_f64 v[44:45], v[46:47], v[66:67]
	v_fma_f64 v[46:47], v[6:7], s[26:27], v[48:49]
	v_fma_f64 v[56:57], v[12:13], s[42:43], v[50:51]
	v_add_f64 v[52:53], v[83:84], v[52:53]
	v_add_f64 v[58:59], v[85:86], v[81:82]
	v_fma_f64 v[60:61], v[6:7], s[26:27], -v[48:49]
	v_add_f64 v[66:67], v[91:92], v[89:90]
	v_add_f64 v[73:74], v[93:94], v[87:88]
	v_fma_f64 v[75:76], v[6:7], s[20:21], v[20:21]
	v_fma_f64 v[81:82], v[12:13], s[18:19], v[18:19]
	v_add_f64 v[83:84], v[28:29], v[36:37]
	v_add_f64 v[26:27], v[26:27], v[34:35]
	v_fma_f64 v[85:86], v[6:7], s[20:21], -v[20:21]
	v_fma_f64 v[87:88], v[12:13], s[38:39], v[18:19]
	v_fma_f64 v[50:51], v[12:13], s[14:15], v[50:51]
	;; [unrolled: 1-line block ×4, first 2 shown]
	v_add_f64 v[93:94], v[14:15], v[22:23]
	v_add_f64 v[95:96], v[16:17], v[24:25]
	v_fma_f64 v[101:102], v[6:7], s[22:23], -v[30:31]
	v_fma_f64 v[109:110], v[12:13], s[10:11], v[32:33]
	v_add_f64 v[6:7], v[103:104], v[141:142]
	v_add_f64 v[48:49], v[99:100], v[115:116]
	;; [unrolled: 1-line block ×19, first 2 shown]
	v_mad_u32_u24 v54, 0xd0, v71, v72
	v_add_f64 v[44:45], v[101:102], v[93:94]
	v_add_f64 v[46:47], v[109:110], v[95:96]
                                        ; implicit-def: $vgpr52_vgpr53
	ds_write_b128 v54, v[0:3]
	ds_write_b128 v54, v[8:11] offset:16
	ds_write_b128 v54, v[4:7] offset:32
	;; [unrolled: 1-line block ×11, first 2 shown]
                                        ; implicit-def: $vgpr58_vgpr59
                                        ; implicit-def: $vgpr62_vgpr63
	ds_write_b128 v54, v[44:47] offset:192
	s_waitcnt lgkmcnt(0)
	s_barrier
	buffer_gl0_inv
	buffer_store_dword v50, off, s[52:55], 0 offset:24 ; 4-byte Folded Spill
	buffer_store_dword v51, off, s[52:55], 0 offset:28 ; 4-byte Folded Spill
	;; [unrolled: 1-line block ×4, first 2 shown]
	s_and_saveexec_b32 s10, vcc_lo
	s_cbranch_execz .LBB0_16
; %bb.15:
	buffer_load_dword v0, off, s[52:55], 0 offset:20 ; 4-byte Folded Reload
	s_waitcnt vmcnt(0)
	ds_read_b128 v[0:3], v0
	ds_read_b128 v[8:11], v68 offset:208
	ds_read_b128 v[4:7], v68 offset:416
	;; [unrolled: 1-line block ×13, first 2 shown]
	s_waitcnt lgkmcnt(0)
	buffer_store_dword v52, off, s[52:55], 0 offset:24 ; 4-byte Folded Spill
	buffer_store_dword v53, off, s[52:55], 0 offset:28 ; 4-byte Folded Spill
	;; [unrolled: 1-line block ×4, first 2 shown]
	ds_read_b128 v[56:59], v68 offset:2912
	ds_read_b128 v[60:63], v68 offset:3120
.LBB0_16:
	s_or_b32 exec_lo, exec_lo, s10
	v_add_nc_u32_e32 v52, -13, v71
	v_mov_b32_e32 v55, 4
	v_cndmask_b32_e32 v71, v52, v71, vcc_lo
	v_add_nc_u32_e32 v54, 26, v71
	v_add_nc_u32_e32 v64, 39, v71
	;; [unrolled: 1-line block ×4, first 2 shown]
	v_mul_lo_u32 v52, v70, v71
	v_mul_lo_u32 v54, v70, v54
	;; [unrolled: 1-line block ×5, first 2 shown]
	v_bfe_u32 v66, v52, 8, 8
	v_lshlrev_b32_sdwa v73, v55, v54 dst_sel:DWORD dst_unused:UNUSED_PAD src0_sel:DWORD src1_sel:BYTE_0
	v_bfe_u32 v74, v54, 8, 8
	v_bfe_u32 v54, v54, 16, 8
	;; [unrolled: 1-line block ×3, first 2 shown]
	v_lshlrev_b32_sdwa v76, v55, v64 dst_sel:DWORD dst_unused:UNUSED_PAD src0_sel:DWORD src1_sel:BYTE_0
	v_bfe_u32 v64, v64, 16, 8
	v_bfe_u32 v79, v65, 8, 8
	v_lshl_or_b32 v77, v54, 4, 0x2000
	v_add_nc_u32_e32 v54, 0x41, v71
	v_lshl_or_b32 v78, v75, 4, 0x1000
	v_add_nc_u32_e32 v75, 0x4e, v71
	v_bfe_u32 v80, v65, 16, 8
	v_lshl_or_b32 v81, v64, 4, 0x2000
	v_mul_lo_u32 v54, v70, v54
	v_lshlrev_b32_sdwa v82, v55, v65 dst_sel:DWORD dst_unused:UNUSED_PAD src0_sel:DWORD src1_sel:BYTE_0
	v_mul_lo_u32 v64, v70, v75
	v_add_nc_u32_e32 v65, 0x5b, v71
	v_lshl_or_b32 v83, v79, 4, 0x1000
	v_bfe_u32 v67, v52, 16, 8
	v_lshlrev_b32_sdwa v69, v55, v53 dst_sel:DWORD dst_unused:UNUSED_PAD src0_sel:DWORD src1_sel:BYTE_0
	v_bfe_u32 v72, v53, 8, 8
	v_bfe_u32 v75, v54, 8, 8
	v_lshlrev_b32_sdwa v84, v55, v54 dst_sel:DWORD dst_unused:UNUSED_PAD src0_sel:DWORD src1_sel:BYTE_0
	v_bfe_u32 v54, v54, 16, 8
	v_mul_lo_u32 v65, v70, v65
	v_bfe_u32 v79, v64, 8, 8
	v_lshl_or_b32 v85, v75, 4, 0x1000
	v_add_nc_u32_e32 v75, 0x68, v71
	v_lshl_or_b32 v86, v54, 4, 0x2000
	v_bfe_u32 v54, v64, 16, 8
	v_lshlrev_b32_sdwa v88, v55, v64 dst_sel:DWORD dst_unused:UNUSED_PAD src0_sel:DWORD src1_sel:BYTE_0
	v_lshl_or_b32 v89, v79, 4, 0x1000
	v_mul_lo_u32 v64, v70, v75
	v_bfe_u32 v75, v65, 8, 8
	v_lshl_or_b32 v90, v54, 4, 0x2000
	v_add_nc_u32_e32 v54, 0x75, v71
	v_lshlrev_b32_sdwa v92, v55, v65 dst_sel:DWORD dst_unused:UNUSED_PAD src0_sel:DWORD src1_sel:BYTE_0
	v_bfe_u32 v65, v65, 16, 8
	v_lshl_or_b32 v93, v75, 4, 0x1000
	v_add_nc_u32_e32 v75, 0x82, v71
	v_mul_lo_u32 v54, v70, v54
	v_bfe_u32 v87, v64, 16, 8
	v_lshl_or_b32 v94, v65, 4, 0x2000
	v_bfe_u32 v79, v64, 8, 8
	v_mul_lo_u32 v65, v70, v75
	v_lshlrev_b32_sdwa v96, v55, v64 dst_sel:DWORD dst_unused:UNUSED_PAD src0_sel:DWORD src1_sel:BYTE_0
	v_lshl_or_b32 v98, v87, 4, 0x2000
	v_add_nc_u32_e32 v64, 0x8f, v71
	v_lshlrev_b32_sdwa v100, v55, v54 dst_sel:DWORD dst_unused:UNUSED_PAD src0_sel:DWORD src1_sel:BYTE_0
	v_bfe_u32 v75, v54, 8, 8
	v_bfe_u32 v54, v54, 16, 8
	v_add_nc_u32_e32 v87, 0x9c, v71
	v_lshl_or_b32 v97, v79, 4, 0x1000
	v_bfe_u32 v79, v65, 8, 8
	v_mul_lo_u32 v64, v70, v64
	v_lshl_or_b32 v102, v54, 4, 0x2000
	v_bfe_u32 v54, v65, 16, 8
	v_lshlrev_b32_sdwa v104, v55, v65 dst_sel:DWORD dst_unused:UNUSED_PAD src0_sel:DWORD src1_sel:BYTE_0
	v_mul_lo_u32 v65, v70, v87
	v_lshl_or_b32 v101, v75, 4, 0x1000
	v_lshl_or_b32 v105, v79, 4, 0x1000
	;; [unrolled: 1-line block ×3, first 2 shown]
	v_bfe_u32 v75, v64, 8, 8
	v_add_nc_u32_e32 v54, 0xa9, v71
	v_bfe_u32 v79, v64, 16, 8
	v_lshlrev_b32_sdwa v108, v55, v64 dst_sel:DWORD dst_unused:UNUSED_PAD src0_sel:DWORD src1_sel:BYTE_0
	v_bfe_u32 v64, v65, 8, 8
	v_lshl_or_b32 v109, v75, 4, 0x1000
	v_mul_lo_u32 v54, v70, v54
	v_add_nc_u32_e32 v75, 0xb6, v71
	v_lshl_or_b32 v110, v79, 4, 0x2000
	v_lshl_or_b32 v113, v64, 4, 0x1000
	v_add_nc_u32_e32 v64, 0xc3, v71
	v_lshlrev_b32_sdwa v112, v55, v65 dst_sel:DWORD dst_unused:UNUSED_PAD src0_sel:DWORD src1_sel:BYTE_0
	v_mul_lo_u32 v75, v70, v75
	v_bfe_u32 v65, v65, 16, 8
	v_bfe_u32 v79, v54, 8, 8
	v_mul_lo_u32 v64, v70, v64
	v_bfe_u32 v53, v53, 16, 8
	v_bfe_u32 v87, v54, 16, 8
	v_lshl_or_b32 v70, v65, 4, 0x2000
	v_lshlrev_b32_sdwa v116, v55, v54 dst_sel:DWORD dst_unused:UNUSED_PAD src0_sel:DWORD src1_sel:BYTE_0
	v_lshl_or_b32 v117, v79, 4, 0x1000
	v_bfe_u32 v54, v75, 8, 8
	v_bfe_u32 v65, v75, 16, 8
	v_lshlrev_b32_sdwa v120, v55, v75 dst_sel:DWORD dst_unused:UNUSED_PAD src0_sel:DWORD src1_sel:BYTE_0
	v_bfe_u32 v75, v64, 8, 8
	v_bfe_u32 v79, v64, 16, 8
	v_lshlrev_b32_sdwa v52, v55, v52 dst_sel:DWORD dst_unused:UNUSED_PAD src0_sel:DWORD src1_sel:BYTE_0
	v_lshl_or_b32 v66, v66, 4, 0x1000
	v_lshl_or_b32 v67, v67, 4, 0x2000
	;; [unrolled: 1-line block ×9, first 2 shown]
	v_lshlrev_b32_sdwa v124, v55, v64 dst_sel:DWORD dst_unused:UNUSED_PAD src0_sel:DWORD src1_sel:BYTE_0
	v_lshl_or_b32 v125, v75, 4, 0x1000
	v_lshl_or_b32 v126, v79, 4, 0x2000
	s_clause 0x2f
	global_load_dwordx4 v[128:131], v52, s[8:9]
	global_load_dwordx4 v[132:135], v66, s[8:9]
	;; [unrolled: 1-line block ×48, first 2 shown]
	s_waitcnt vmcnt(0) lgkmcnt(0)
	s_waitcnt_vscnt null, 0x0
	s_barrier
	buffer_gl0_inv
	s_and_saveexec_b32 s18, vcc_lo
	s_cbranch_execz .LBB0_18
; %bb.17:
	v_mul_f64 v[69:70], v[250:251], v[254:255]
	s_mov_b32 s12, 0x667f3bcd
	s_mov_b32 s13, 0x3fe6a09e
	s_mov_b32 s14, 0xcf328d46
	s_mov_b32 s15, 0x3fed906b
	s_mov_b32 s8, 0xa6aea964
	s_mov_b32 s9, 0xbfd87de2
	s_mov_b32 s11, 0x3fd87de2
	s_mov_b32 s10, s8
	s_mov_b32 s21, 0xbfed906b
	s_mov_b32 s20, s14
	v_fma_f64 v[69:70], v[248:249], v[252:253], -v[69:70]
	buffer_store_dword v69, off, s[52:55], 0 offset:84 ; 4-byte Folded Spill
	buffer_store_dword v70, off, s[52:55], 0 offset:88 ; 4-byte Folded Spill
	v_mul_f64 v[69:70], v[248:249], v[254:255]
	v_fma_f64 v[248:249], v[250:251], v[252:253], v[69:70]
	v_mul_f64 v[69:70], v[242:243], v[246:247]
	v_fma_f64 v[250:251], v[240:241], v[244:245], -v[69:70]
	v_mul_f64 v[69:70], v[240:241], v[246:247]
	v_fma_f64 v[240:241], v[242:243], v[244:245], v[69:70]
	v_mul_f64 v[69:70], v[234:235], v[238:239]
	v_fma_f64 v[242:243], v[232:233], v[236:237], -v[69:70]
	;; [unrolled: 4-line block ×15, first 2 shown]
	v_mul_f64 v[128:129], v[128:129], v[134:135]
	v_fma_f64 v[140:141], v[130:131], v[132:133], v[128:129]
	v_mul_i32_i24_e32 v128, 15, v71
	v_mov_b32_e32 v129, 0
	v_lshlrev_b64 v[128:129], 4, v[128:129]
	v_add_co_u32 v142, vcc_lo, s16, v128
	v_add_co_ci_u32_e32 v143, vcc_lo, s17, v129, vcc_lo
	s_clause 0x1
	global_load_dwordx4 v[128:131], v[142:143], off offset:32
	global_load_dwordx4 v[132:135], v[142:143], off offset:48
	s_mov_b32 s17, 0xbfe6a09e
	s_mov_b32 s16, s12
	s_waitcnt vmcnt(1)
	v_mul_f64 v[148:149], v[20:21], v[130:131]
	v_fma_f64 v[148:149], v[22:23], v[128:129], -v[148:149]
	v_mul_f64 v[22:23], v[22:23], v[130:131]
	v_fma_f64 v[150:151], v[20:21], v[128:129], v[22:23]
	s_clause 0x1
	global_load_dwordx4 v[20:23], v[142:143], off offset:160
	global_load_dwordx4 v[128:131], v[142:143], off offset:176
	s_waitcnt vmcnt(1)
	v_mul_f64 v[156:157], v[48:49], v[22:23]
	v_mul_f64 v[22:23], v[50:51], v[22:23]
	v_fma_f64 v[156:157], v[50:51], v[20:21], -v[156:157]
	v_fma_f64 v[158:159], v[48:49], v[20:21], v[22:23]
	s_clause 0x1
	global_load_dwordx4 v[20:23], v[142:143], off offset:96
	global_load_dwordx4 v[48:51], v[142:143], off offset:112
	s_waitcnt vmcnt(1)
	v_mul_f64 v[164:165], v[42:43], v[22:23]
	v_mul_f64 v[22:23], v[40:41], v[22:23]
	v_fma_f64 v[164:165], v[40:41], v[20:21], v[164:165]
	v_fma_f64 v[166:167], v[42:43], v[20:21], -v[22:23]
	global_load_dwordx4 v[20:23], v[142:143], off offset:224
	s_waitcnt vmcnt(0)
	v_mul_f64 v[40:41], v[62:63], v[22:23]
	v_mul_f64 v[22:23], v[60:61], v[22:23]
	v_fma_f64 v[172:173], v[60:61], v[20:21], v[40:41]
	v_fma_f64 v[60:61], v[62:63], v[20:21], -v[22:23]
	s_clause 0x1
	global_load_dwordx4 v[20:23], v[142:143], off offset:80
	global_load_dwordx4 v[40:43], v[142:143], off offset:64
	v_add_f64 v[60:61], v[166:167], -v[60:61]
	s_waitcnt vmcnt(1)
	v_mul_f64 v[62:63], v[34:35], v[22:23]
	v_mul_f64 v[22:23], v[32:33], v[22:23]
	v_fma_f64 v[62:63], v[32:33], v[20:21], v[62:63]
	v_fma_f64 v[174:175], v[34:35], v[20:21], -v[22:23]
	s_clause 0x1
	global_load_dwordx4 v[20:23], v[142:143], off offset:208
	global_load_dwordx4 v[32:35], v[142:143], off offset:192
	s_waitcnt vmcnt(1)
	v_mul_f64 v[180:181], v[58:59], v[22:23]
	v_mul_f64 v[22:23], v[56:57], v[22:23]
	v_fma_f64 v[180:181], v[56:57], v[20:21], v[180:181]
	v_fma_f64 v[182:183], v[58:59], v[20:21], -v[22:23]
	s_clause 0x1
	global_load_dwordx4 v[20:23], v[142:143], off
	global_load_dwordx4 v[56:59], v[142:143], off offset:16
	s_waitcnt vmcnt(1)
	v_mul_f64 v[188:189], v[8:9], v[22:23]
	v_fma_f64 v[188:189], v[10:11], v[20:21], -v[188:189]
	v_mul_f64 v[10:11], v[10:11], v[22:23]
	v_fma_f64 v[190:191], v[8:9], v[20:21], v[10:11]
	s_clause 0x1
	global_load_dwordx4 v[8:11], v[142:143], off offset:128
	global_load_dwordx4 v[20:23], v[142:143], off offset:144
	s_waitcnt vmcnt(1)
	v_mul_f64 v[142:143], v[36:37], v[10:11]
	v_mul_f64 v[10:11], v[38:39], v[10:11]
	v_fma_f64 v[142:143], v[38:39], v[8:9], -v[142:143]
	v_fma_f64 v[8:9], v[36:37], v[8:9], v[10:11]
	s_clause 0x3
	buffer_load_dword v36, off, s[52:55], 0 offset:24
	buffer_load_dword v37, off, s[52:55], 0 offset:28
	;; [unrolled: 1-line block ×4, first 2 shown]
	v_mul_f64 v[10:11], v[18:19], v[42:43]
	v_fma_f64 v[10:11], v[16:17], v[40:41], v[10:11]
	v_mul_f64 v[16:17], v[16:17], v[42:43]
	v_mul_f64 v[42:43], v[216:217], v[110:111]
	v_fma_f64 v[16:17], v[18:19], v[40:41], -v[16:17]
	v_mul_f64 v[40:41], v[234:235], v[114:115]
	v_fma_f64 v[42:43], v[108:109], v[226:227], -v[42:43]
	v_fma_f64 v[40:41], v[112:113], v[224:225], v[40:41]
	s_waitcnt vmcnt(0)
	v_mul_f64 v[18:19], v[38:39], v[34:35]
	v_mul_f64 v[34:35], v[36:37], v[34:35]
	v_fma_f64 v[18:19], v[36:37], v[32:33], v[18:19]
	v_fma_f64 v[32:33], v[38:39], v[32:33], -v[34:35]
	v_mul_f64 v[34:35], v[26:27], v[50:51]
	v_mul_f64 v[38:39], v[232:233], v[118:119]
	v_add_f64 v[18:19], v[10:11], -v[18:19]
	v_fma_f64 v[34:35], v[24:25], v[48:49], v[34:35]
	v_mul_f64 v[24:25], v[24:25], v[50:51]
	v_mul_f64 v[50:51], v[208:209], v[106:107]
	v_fma_f64 v[10:11], v[10:11], 2.0, -v[18:19]
	v_fma_f64 v[24:25], v[26:27], v[48:49], -v[24:25]
	v_mul_f64 v[26:27], v[6:7], v[58:59]
	v_fma_f64 v[50:51], v[104:105], v[218:219], -v[50:51]
	v_mul_f64 v[48:49], v[226:227], v[110:111]
	v_add_f64 v[110:111], v[2:3], -v[24:25]
	v_fma_f64 v[26:27], v[4:5], v[56:57], v[26:27]
	v_mul_f64 v[4:5], v[4:5], v[58:59]
	v_mul_f64 v[58:59], v[200:201], v[102:103]
	;; [unrolled: 1-line block ×3, first 2 shown]
	v_add_f64 v[24:25], v[62:63], -v[180:181]
	v_fma_f64 v[48:49], v[108:109], v[216:217], v[48:49]
	v_add_f64 v[108:109], v[188:189], -v[142:143]
	v_fma_f64 v[36:37], v[6:7], v[56:57], -v[4:5]
	v_mul_f64 v[6:7], v[28:29], v[22:23]
	v_mul_f64 v[4:5], v[30:31], v[22:23]
	v_fma_f64 v[58:59], v[100:101], v[210:211], -v[58:59]
	v_fma_f64 v[100:101], v[100:101], v[200:201], v[102:103]
	v_mul_f64 v[102:103], v[192:193], v[98:99]
	v_mul_f64 v[22:23], v[46:47], v[130:131]
	;; [unrolled: 1-line block ×3, first 2 shown]
	v_add_f64 v[106:107], v[0:1], -v[34:35]
	v_add_f64 v[34:35], v[164:165], -v[172:173]
	v_fma_f64 v[6:7], v[30:31], v[20:21], -v[6:7]
	s_clause 0x1
	buffer_load_dword v30, off, s[52:55], 0 offset:84
	buffer_load_dword v31, off, s[52:55], 0 offset:88
	v_fma_f64 v[4:5], v[28:29], v[20:21], v[4:5]
	v_mul_f64 v[20:21], v[12:13], v[134:135]
	v_fma_f64 v[102:103], v[96:97], v[69:70], -v[102:103]
	v_mul_f64 v[69:70], v[69:70], v[98:99]
	v_fma_f64 v[22:23], v[44:45], v[128:129], v[22:23]
	v_mul_f64 v[28:29], v[248:249], v[126:127]
	v_fma_f64 v[56:57], v[104:105], v[208:209], v[56:57]
	v_add_f64 v[104:105], v[26:27], -v[4:5]
	v_fma_f64 v[20:21], v[14:15], v[132:133], -v[20:21]
	v_mul_f64 v[14:15], v[14:15], v[134:135]
	v_fma_f64 v[69:70], v[96:97], v[192:193], v[69:70]
	v_mul_f64 v[96:97], v[184:185], v[94:95]
	v_mul_f64 v[94:95], v[194:195], v[94:95]
	v_fma_f64 v[26:27], v[26:27], 2.0, -v[104:105]
	v_fma_f64 v[12:13], v[12:13], v[132:133], v[14:15]
	v_mul_f64 v[14:15], v[44:45], v[130:131]
	v_fma_f64 v[96:97], v[92:93], v[194:195], -v[96:97]
	v_fma_f64 v[92:93], v[92:93], v[184:185], v[94:95]
	v_mul_f64 v[94:95], v[176:177], v[90:91]
	v_mul_f64 v[90:91], v[186:187], v[90:91]
	v_fma_f64 v[44:45], v[116:117], v[242:243], -v[38:39]
	v_mul_f64 v[38:39], v[242:243], v[118:119]
	v_add_f64 v[22:23], v[12:13], -v[22:23]
	v_fma_f64 v[14:15], v[46:47], v[128:129], -v[14:15]
	v_fma_f64 v[94:95], v[88:89], v[186:187], -v[94:95]
	v_fma_f64 v[88:89], v[88:89], v[176:177], v[90:91]
	v_mul_f64 v[90:91], v[168:169], v[86:87]
	v_mul_f64 v[86:87], v[178:179], v[86:87]
	v_fma_f64 v[46:47], v[116:117], v[232:233], v[38:39]
	v_mul_f64 v[38:39], v[224:225], v[114:115]
	v_add_f64 v[114:115], v[36:37], -v[6:7]
	v_add_f64 v[14:15], v[20:21], -v[14:15]
	v_fma_f64 v[90:91], v[84:85], v[178:179], -v[90:91]
	v_fma_f64 v[84:85], v[84:85], v[168:169], v[86:87]
	v_mul_f64 v[86:87], v[160:161], v[82:83]
	v_mul_f64 v[82:83], v[170:171], v[82:83]
	v_fma_f64 v[38:39], v[112:113], v[234:235], -v[38:39]
	v_add_f64 v[112:113], v[148:149], -v[156:157]
	v_add_f64 v[132:133], v[114:115], -v[24:25]
	v_fma_f64 v[36:37], v[36:37], 2.0, -v[114:115]
	v_add_f64 v[130:131], v[106:107], v[14:15]
	v_fma_f64 v[14:15], v[20:21], 2.0, -v[14:15]
	v_fma_f64 v[20:21], v[62:63], 2.0, -v[24:25]
	v_fma_f64 v[86:87], v[80:81], v[170:171], -v[86:87]
	v_fma_f64 v[80:81], v[80:81], v[160:161], v[82:83]
	v_mul_f64 v[82:83], v[152:153], v[78:79]
	v_mul_f64 v[78:79], v[162:163], v[78:79]
	v_fma_f64 v[82:83], v[76:77], v[162:163], -v[82:83]
	v_fma_f64 v[76:77], v[76:77], v[152:153], v[78:79]
	v_mul_f64 v[78:79], v[144:145], v[74:75]
	v_mul_f64 v[74:75], v[154:155], v[74:75]
	;; [unrolled: 4-line block ×4, first 2 shown]
	v_add_f64 v[66:67], v[190:191], -v[8:9]
	v_add_f64 v[8:9], v[16:17], -v[32:33]
	;; [unrolled: 1-line block ×4, first 2 shown]
	v_fma_f64 v[52:53], v[64:65], v[138:139], -v[52:53]
	v_fma_f64 v[54:55], v[64:65], v[140:141], v[54:55]
	v_add_f64 v[64:65], v[150:151], -v[158:159]
	v_add_f64 v[118:119], v[66:67], v[8:9]
	v_add_f64 v[140:141], v[108:109], -v[18:19]
	v_fma_f64 v[8:9], v[16:17], 2.0, -v[8:9]
	v_fma_f64 v[16:17], v[164:165], 2.0, -v[34:35]
	v_fma_f64 v[18:19], v[166:167], 2.0, -v[60:61]
	v_fma_f64 v[24:25], v[174:175], 2.0, -v[32:33]
	v_add_f64 v[116:117], v[64:65], v[60:61]
	v_fma_f64 v[60:61], v[188:189], 2.0, -v[108:109]
	v_fma_f64 v[62:63], v[150:151], 2.0, -v[64:65]
	v_add_f64 v[24:25], v[36:37], -v[24:25]
	v_fma_f64 v[4:5], v[116:117], s[12:13], v[118:119]
	v_add_f64 v[16:17], v[62:63], -v[16:17]
	s_waitcnt vmcnt(0)
	v_fma_f64 v[128:129], v[124:125], v[30:31], -v[28:29]
	v_mul_f64 v[28:29], v[30:31], v[126:127]
	v_mul_f64 v[30:31], v[250:251], v[122:123]
	v_add_f64 v[126:127], v[104:105], v[32:33]
	v_fma_f64 v[32:33], v[2:3], 2.0, -v[110:111]
	v_fma_f64 v[124:125], v[124:125], v[248:249], v[28:29]
	v_mul_f64 v[28:29], v[240:241], v[122:123]
	v_fma_f64 v[30:31], v[120:121], v[240:241], v[30:31]
	v_add_f64 v[150:151], v[32:33], -v[14:15]
	v_add_f64 v[14:15], v[26:27], -v[20:21]
	v_fma_f64 v[28:29], v[120:121], v[250:251], -v[28:29]
	v_add_f64 v[120:121], v[112:113], -v[34:35]
	v_fma_f64 v[34:35], v[0:1], 2.0, -v[106:107]
	v_fma_f64 v[0:1], v[12:13], 2.0, -v[22:23]
	;; [unrolled: 1-line block ×4, first 2 shown]
	v_add_f64 v[148:149], v[60:61], -v[8:9]
	v_add_f64 v[158:159], v[150:151], -v[14:15]
	v_fma_f64 v[14:15], v[26:27], 2.0, -v[14:15]
	v_fma_f64 v[122:123], v[120:121], s[12:13], v[4:5]
	v_fma_f64 v[4:5], v[126:127], s[12:13], v[130:131]
	v_add_f64 v[18:19], v[22:23], -v[18:19]
	v_add_f64 v[156:157], v[148:149], -v[16:17]
	v_fma_f64 v[16:17], v[62:63], 2.0, -v[16:17]
	v_fma_f64 v[62:63], v[66:67], 2.0, -v[118:119]
	v_fma_f64 v[134:135], v[132:133], s[12:13], v[4:5]
	v_fma_f64 v[4:5], v[132:133], s[12:13], v[136:137]
	;; [unrolled: 1-line block ×9, first 2 shown]
	v_fma_f64 v[4:5], v[134:135], 2.0, -v[144:145]
	v_fma_f64 v[6:7], v[138:139], 2.0, -v[146:147]
	v_mul_f64 v[152:153], v[4:5], v[92:93]
	v_mul_f64 v[92:93], v[6:7], v[92:93]
	v_fma_f64 v[6:7], v[6:7], v[96:97], -v[152:153]
	v_fma_f64 v[4:5], v[4:5], v[96:97], v[92:93]
	v_add_f64 v[92:93], v[12:13], -v[10:11]
	v_add_f64 v[96:97], v[34:35], -v[0:1]
	v_add_f64 v[152:153], v[92:93], v[18:19]
	v_add_f64 v[154:155], v[96:97], v[24:25]
	v_fma_f64 v[18:19], v[22:23], 2.0, -v[18:19]
	v_fma_f64 v[22:23], v[32:33], 2.0, -v[150:151]
	;; [unrolled: 1-line block ×3, first 2 shown]
	v_fma_f64 v[0:1], v[152:153], s[12:13], v[154:155]
	v_add_f64 v[32:33], v[26:27], -v[14:15]
	v_fma_f64 v[8:9], v[156:157], s[12:13], v[0:1]
	v_fma_f64 v[0:1], v[156:157], s[12:13], v[158:159]
	v_fma_f64 v[26:27], v[26:27], 2.0, -v[32:33]
	v_fma_f64 v[10:11], v[152:153], s[16:17], v[0:1]
	v_mul_f64 v[0:1], v[8:9], v[30:31]
	v_mul_f64 v[20:21], v[10:11], v[30:31]
	v_fma_f64 v[2:3], v[10:11], v[28:29], -v[0:1]
	v_fma_f64 v[10:11], v[158:159], 2.0, -v[10:11]
	v_fma_f64 v[0:1], v[8:9], v[28:29], v[20:21]
	v_fma_f64 v[8:9], v[154:155], 2.0, -v[8:9]
	v_mul_f64 v[28:29], v[10:11], v[88:89]
	v_mul_f64 v[20:21], v[8:9], v[88:89]
	v_fma_f64 v[8:9], v[8:9], v[94:95], v[28:29]
	v_fma_f64 v[28:29], v[12:13], 2.0, -v[92:93]
	v_fma_f64 v[10:11], v[10:11], v[94:95], -v[20:21]
	v_fma_f64 v[20:21], v[36:37], 2.0, -v[24:25]
	v_fma_f64 v[24:25], v[60:61], 2.0, -v[148:149]
	v_add_f64 v[34:35], v[28:29], -v[16:17]
	v_fma_f64 v[60:61], v[104:105], 2.0, -v[126:127]
	v_add_f64 v[20:21], v[22:23], -v[20:21]
	v_add_f64 v[30:31], v[24:25], -v[18:19]
	;; [unrolled: 1-line block ×3, first 2 shown]
	v_add_f64 v[16:17], v[32:33], v[30:31]
	v_mul_f64 v[36:37], v[18:19], v[40:41]
	v_mul_f64 v[12:13], v[16:17], v[40:41]
	v_fma_f64 v[14:15], v[18:19], v[38:39], -v[12:13]
	v_fma_f64 v[12:13], v[16:17], v[38:39], v[36:37]
	v_fma_f64 v[16:17], v[32:33], 2.0, -v[16:17]
	v_fma_f64 v[18:19], v[20:21], 2.0, -v[18:19]
	;; [unrolled: 1-line block ×3, first 2 shown]
	v_mul_f64 v[36:37], v[16:17], v[80:81]
	v_mul_f64 v[38:39], v[18:19], v[80:81]
	v_fma_f64 v[18:19], v[18:19], v[86:87], -v[36:37]
	v_fma_f64 v[36:37], v[22:23], 2.0, -v[20:21]
	v_fma_f64 v[20:21], v[28:29], 2.0, -v[34:35]
	;; [unrolled: 1-line block ×4, first 2 shown]
	v_fma_f64 v[16:17], v[16:17], v[86:87], v[38:39]
	v_add_f64 v[24:25], v[26:27], -v[20:21]
	v_add_f64 v[28:29], v[36:37], -v[22:23]
	v_mul_f64 v[20:21], v[24:25], v[69:70]
	v_mul_f64 v[30:31], v[28:29], v[69:70]
	v_fma_f64 v[22:23], v[28:29], v[102:103], -v[20:21]
	v_fma_f64 v[20:21], v[24:25], v[102:103], v[30:31]
	v_fma_f64 v[24:25], v[26:27], 2.0, -v[24:25]
	v_fma_f64 v[26:27], v[36:37], 2.0, -v[28:29]
	v_mul_f64 v[28:29], v[54:55], v[24:25]
	v_mul_f64 v[30:31], v[54:55], v[26:27]
	v_fma_f64 v[26:27], v[52:53], v[26:27], -v[28:29]
	v_fma_f64 v[28:29], v[92:93], 2.0, -v[152:153]
	v_fma_f64 v[24:25], v[52:53], v[24:25], v[30:31]
	v_fma_f64 v[30:31], v[148:149], 2.0, -v[156:157]
	v_fma_f64 v[36:37], v[28:29], s[16:17], v[32:33]
	v_fma_f64 v[36:37], v[30:31], s[12:13], v[36:37]
	;; [unrolled: 1-line block ×3, first 2 shown]
	v_fma_f64 v[32:33], v[32:33], 2.0, -v[36:37]
	v_fma_f64 v[38:39], v[28:29], s[16:17], v[30:31]
	v_mul_f64 v[28:29], v[36:37], v[56:57]
	v_mul_f64 v[40:41], v[38:39], v[56:57]
	v_fma_f64 v[30:31], v[38:39], v[50:51], -v[28:29]
	v_fma_f64 v[34:35], v[34:35], 2.0, -v[38:39]
	v_fma_f64 v[56:57], v[114:115], 2.0, -v[132:133]
	v_fma_f64 v[28:29], v[36:37], v[50:51], v[40:41]
	v_mul_f64 v[36:37], v[32:33], v[71:72]
	v_mul_f64 v[38:39], v[34:35], v[71:72]
	v_fma_f64 v[40:41], v[130:131], 2.0, -v[134:135]
	v_fma_f64 v[50:51], v[136:137], 2.0, -v[138:139]
	v_fma_f64 v[34:35], v[34:35], v[78:79], -v[36:37]
	v_fma_f64 v[36:37], v[118:119], 2.0, -v[122:123]
	v_fma_f64 v[32:33], v[32:33], v[78:79], v[38:39]
	v_fma_f64 v[38:39], v[140:141], 2.0, -v[142:143]
	v_fma_f64 v[52:53], v[36:37], s[8:9], v[40:41]
	v_fma_f64 v[52:53], v[38:39], s[14:15], v[52:53]
	;; [unrolled: 1-line block ×3, first 2 shown]
	v_fma_f64 v[40:41], v[40:41], 2.0, -v[52:53]
	v_fma_f64 v[54:55], v[36:37], s[20:21], v[38:39]
	v_mul_f64 v[36:37], v[52:53], v[48:49]
	v_mul_f64 v[48:49], v[54:55], v[48:49]
	v_fma_f64 v[38:39], v[54:55], v[42:43], -v[36:37]
	v_fma_f64 v[36:37], v[52:53], v[42:43], v[48:49]
	v_fma_f64 v[42:43], v[50:51], 2.0, -v[54:55]
	v_mul_f64 v[48:49], v[40:41], v[76:77]
	v_fma_f64 v[52:53], v[108:109], 2.0, -v[140:141]
	v_fma_f64 v[54:55], v[110:111], 2.0, -v[136:137]
	v_mul_f64 v[50:51], v[42:43], v[76:77]
	v_fma_f64 v[42:43], v[42:43], v[82:83], -v[48:49]
	v_fma_f64 v[48:49], v[112:113], 2.0, -v[120:121]
	v_fma_f64 v[40:41], v[40:41], v[82:83], v[50:51]
	v_fma_f64 v[50:51], v[64:65], 2.0, -v[116:117]
	v_fma_f64 v[66:67], v[48:49], s[16:17], v[52:53]
	;; [unrolled: 2-line block ×3, first 2 shown]
	v_fma_f64 v[50:51], v[50:51], s[16:17], v[62:63]
	v_fma_f64 v[52:53], v[52:53], 2.0, -v[66:67]
	v_fma_f64 v[69:70], v[48:49], s[12:13], v[50:51]
	v_fma_f64 v[48:49], v[60:61], s[16:17], v[64:65]
	v_fma_f64 v[71:72], v[56:57], s[12:13], v[48:49]
	v_fma_f64 v[48:49], v[56:57], s[16:17], v[54:55]
	v_fma_f64 v[56:57], v[60:61], s[16:17], v[48:49]
	v_fma_f64 v[48:49], v[69:70], s[10:11], v[71:72]
	v_fma_f64 v[50:51], v[66:67], s[10:11], v[56:57]
	v_fma_f64 v[48:49], v[66:67], s[14:15], v[48:49]
	v_fma_f64 v[50:51], v[69:70], s[20:21], v[50:51]
	v_mul_f64 v[60:61], v[48:49], v[46:47]
	v_mul_f64 v[75:76], v[50:51], v[46:47]
	v_fma_f64 v[46:47], v[50:51], v[44:45], -v[60:61]
	v_fma_f64 v[50:51], v[56:57], 2.0, -v[50:51]
	v_fma_f64 v[56:57], v[54:55], 2.0, -v[56:57]
	v_fma_f64 v[44:45], v[48:49], v[44:45], v[75:76]
	ds_write_b128 v68, v[12:15] offset:2496
	ds_write_b128 v68, v[0:3] offset:2912
	;; [unrolled: 1-line block ×9, first 2 shown]
	buffer_load_dword v0, off, s[52:55], 0 offset:20 ; 4-byte Folded Reload
	v_fma_f64 v[48:49], v[71:72], 2.0, -v[48:49]
	v_mul_f64 v[75:76], v[50:51], v[84:85]
	v_mul_f64 v[60:61], v[48:49], v[84:85]
	v_fma_f64 v[48:49], v[48:49], v[90:91], v[75:76]
	v_fma_f64 v[50:51], v[50:51], v[90:91], -v[60:61]
	v_fma_f64 v[60:61], v[62:63], 2.0, -v[69:70]
	v_fma_f64 v[62:63], v[64:65], 2.0, -v[71:72]
	v_fma_f64 v[54:55], v[60:61], s[20:21], v[62:63]
	v_fma_f64 v[64:65], v[52:53], s[10:11], v[54:55]
	;; [unrolled: 1-line block ×3, first 2 shown]
	v_fma_f64 v[62:63], v[62:63], 2.0, -v[64:65]
	v_fma_f64 v[60:61], v[60:61], s[8:9], v[52:53]
	v_mul_f64 v[52:53], v[64:65], v[100:101]
	v_mul_f64 v[66:67], v[60:61], v[100:101]
	v_fma_f64 v[56:57], v[56:57], 2.0, -v[60:61]
	v_fma_f64 v[54:55], v[60:61], v[58:59], -v[52:53]
	v_fma_f64 v[52:53], v[64:65], v[58:59], v[66:67]
	v_mul_f64 v[58:59], v[62:63], v[98:99]
	v_mul_f64 v[60:61], v[56:57], v[98:99]
	;; [unrolled: 1-line block ×3, first 2 shown]
	v_fma_f64 v[58:59], v[56:57], v[73:74], -v[58:59]
	v_fma_f64 v[56:57], v[62:63], v[73:74], v[60:61]
	v_mul_f64 v[60:61], v[144:145], v[124:125]
	v_fma_f64 v[62:63], v[146:147], v[128:129], -v[60:61]
	v_fma_f64 v[60:61], v[144:145], v[128:129], v[64:65]
	s_waitcnt vmcnt(0)
	ds_write_b128 v0, v[24:27]
	ds_write_b128 v68, v[32:35] offset:416
	ds_write_b128 v68, v[40:43] offset:624
	;; [unrolled: 1-line block ×6, first 2 shown]
.LBB0_18:
	s_or_b32 exec_lo, exec_lo, s18
	s_waitcnt lgkmcnt(0)
	s_waitcnt_vscnt null, 0x0
	s_barrier
	buffer_gl0_inv
	s_and_saveexec_b32 s8, s33
	s_cbranch_execz .LBB0_20
; %bb.19:
	s_clause 0x2
	buffer_load_dword v5, off, s[52:55], 0 offset:12
	buffer_load_dword v7, off, s[52:55], 0 offset:8
	buffer_load_dword v6, off, s[52:55], 0
	s_waitcnt vmcnt(2)
	v_mad_u64_u32 v[0:1], null, s2, v5, 0
	s_waitcnt vmcnt(0)
	v_mad_u64_u32 v[2:3], null, s0, v6, 0
	v_mad_u64_u32 v[8:9], null, s0, v7, 0
	;; [unrolled: 1-line block ×3, first 2 shown]
	v_mov_b32_e32 v1, v9
	s_lshl_b64 s[2:3], s[6:7], 4
	s_add_u32 s2, s4, s2
	s_addc_u32 s3, s5, s3
	v_mad_u64_u32 v[5:6], null, s1, v6, v[3:4]
	s_clause 0x2
	buffer_load_dword v3, off, s[52:55], 0 offset:4
	buffer_load_dword v6, off, s[52:55], 0 offset:16
	;; [unrolled: 1-line block ×3, first 2 shown]
	s_waitcnt vmcnt(1)
	v_add3_u32 v25, 0, v6, v3
	v_mad_u64_u32 v[6:7], null, s1, v7, v[1:2]
	v_mov_b32_e32 v1, v4
	v_mov_b32_e32 v3, v5
	s_waitcnt vmcnt(0)
	v_mad_u64_u32 v[10:11], null, s0, v16, 0
	v_lshlrev_b64 v[0:1], 4, v[0:1]
	v_mov_b32_e32 v9, v6
	v_lshlrev_b64 v[12:13], 4, v[2:3]
	v_add_co_u32 v26, vcc_lo, s2, v0
	v_add_co_ci_u32_e32 v27, vcc_lo, s3, v1, vcc_lo
	ds_read_b128 v[0:3], v25
	ds_read_b128 v[4:7], v25 offset:256
	buffer_load_dword v18, off, s[52:55], 0 offset:76 ; 4-byte Folded Reload
	v_add_co_u32 v12, vcc_lo, v26, v12
	v_lshlrev_b64 v[8:9], 4, v[8:9]
	v_add_co_ci_u32_e32 v13, vcc_lo, v27, v13, vcc_lo
	v_mad_u64_u32 v[16:17], null, s1, v16, v[11:12]
	v_add_co_u32 v8, vcc_lo, v26, v8
	v_add_co_ci_u32_e32 v9, vcc_lo, v27, v9, vcc_lo
	s_waitcnt vmcnt(0)
	v_mad_u64_u32 v[14:15], null, s0, v18, 0
	v_mov_b32_e32 v11, v15
	v_mad_u64_u32 v[17:18], null, s1, v18, v[11:12]
	v_mov_b32_e32 v11, v16
	buffer_load_dword v16, off, s[52:55], 0 offset:72 ; 4-byte Folded Reload
	s_waitcnt lgkmcnt(1)
	global_store_dwordx4 v[12:13], v[0:3], off
	s_waitcnt lgkmcnt(0)
	global_store_dwordx4 v[8:9], v[4:7], off
	ds_read_b128 v[0:3], v25 offset:512
	ds_read_b128 v[4:7], v25 offset:768
	s_clause 0x1
	buffer_load_dword v20, off, s[52:55], 0 offset:68
	buffer_load_dword v23, off, s[52:55], 0 offset:64
	v_mov_b32_e32 v15, v17
	v_lshlrev_b64 v[8:9], 4, v[10:11]
	v_lshlrev_b64 v[14:15], 4, v[14:15]
	s_waitcnt vmcnt(2)
	v_mad_u64_u32 v[18:19], null, s0, v16, 0
	s_waitcnt vmcnt(1)
	v_mad_u64_u32 v[12:13], null, s0, v20, 0
	v_mov_b32_e32 v10, v19
	v_mad_u64_u32 v[10:11], null, s1, v16, v[10:11]
	v_add_co_u32 v16, vcc_lo, v26, v8
	v_add_co_ci_u32_e32 v17, vcc_lo, v27, v9, vcc_lo
	v_mov_b32_e32 v8, v13
	v_add_co_u32 v13, vcc_lo, v26, v14
	v_add_co_ci_u32_e32 v14, vcc_lo, v27, v15, vcc_lo
	v_mov_b32_e32 v19, v10
	v_mad_u64_u32 v[20:21], null, s1, v20, v[8:9]
	ds_read_b128 v[8:11], v25 offset:1024
	s_waitcnt lgkmcnt(2)
	global_store_dwordx4 v[16:17], v[0:3], off
	s_waitcnt lgkmcnt(1)
	global_store_dwordx4 v[13:14], v[4:7], off
	buffer_load_dword v16, off, s[52:55], 0 offset:60 ; 4-byte Folded Reload
	v_lshlrev_b64 v[4:5], 4, v[18:19]
	s_waitcnt vmcnt(1)
	v_mad_u64_u32 v[21:22], null, s0, v23, 0
	v_mov_b32_e32 v13, v20
	ds_read_b128 v[0:3], v25 offset:1280
	v_add_co_u32 v4, vcc_lo, v26, v4
	v_add_co_ci_u32_e32 v5, vcc_lo, v27, v5, vcc_lo
	v_mov_b32_e32 v6, v22
	v_lshlrev_b64 v[12:13], 4, v[12:13]
	v_mad_u64_u32 v[6:7], null, s1, v23, v[6:7]
	s_waitcnt lgkmcnt(1)
	global_store_dwordx4 v[4:5], v[8:11], off
	buffer_load_dword v11, off, s[52:55], 0 offset:56 ; 4-byte Folded Reload
	v_add_co_u32 v7, vcc_lo, v26, v12
	v_add_co_ci_u32_e32 v8, vcc_lo, v27, v13, vcc_lo
	v_mov_b32_e32 v22, v6
	s_waitcnt lgkmcnt(0)
	global_store_dwordx4 v[7:8], v[0:3], off
	ds_read_b128 v[0:3], v25 offset:1536
	v_lshlrev_b64 v[8:9], 4, v[21:22]
	s_waitcnt vmcnt(1)
	v_mad_u64_u32 v[14:15], null, s0, v16, 0
	v_mov_b32_e32 v4, v15
	v_mad_u64_u32 v[4:5], null, s1, v16, v[4:5]
	v_add_co_u32 v16, vcc_lo, v26, v8
	v_add_co_ci_u32_e32 v17, vcc_lo, v27, v9, vcc_lo
	s_waitcnt vmcnt(0)
	v_mad_u64_u32 v[12:13], null, s0, v11, 0
	v_mov_b32_e32 v15, v4
	ds_read_b128 v[4:7], v25 offset:1792
	s_waitcnt lgkmcnt(1)
	global_store_dwordx4 v[16:17], v[0:3], off
	v_mov_b32_e32 v10, v13
	v_lshlrev_b64 v[13:14], 4, v[14:15]
	buffer_load_dword v15, off, s[52:55], 0 offset:52 ; 4-byte Folded Reload
	v_mad_u64_u32 v[18:19], null, s1, v11, v[10:11]
	ds_read_b128 v[8:11], v25 offset:2048
	v_add_co_u32 v21, vcc_lo, v26, v13
	v_add_co_ci_u32_e32 v22, vcc_lo, v27, v14, vcc_lo
	v_mov_b32_e32 v13, v18
	buffer_load_dword v18, off, s[52:55], 0 offset:44 ; 4-byte Folded Reload
	s_waitcnt lgkmcnt(1)
	global_store_dwordx4 v[21:22], v[4:7], off
	buffer_load_dword v21, off, s[52:55], 0 offset:48 ; 4-byte Folded Reload
	v_lshlrev_b64 v[1:2], 4, v[12:13]
	v_add_co_u32 v12, vcc_lo, v26, v1
	v_add_co_ci_u32_e32 v13, vcc_lo, v27, v2, vcc_lo
	s_waitcnt vmcnt(2)
	v_mad_u64_u32 v[19:20], null, s0, v15, 0
	v_mov_b32_e32 v0, v20
	v_mad_u64_u32 v[4:5], null, s1, v15, v[0:1]
	ds_read_b128 v[0:3], v25 offset:2304
	s_waitcnt lgkmcnt(1)
	global_store_dwordx4 v[12:13], v[8:11], off
	buffer_load_dword v12, off, s[52:55], 0 offset:40 ; 4-byte Folded Reload
	s_waitcnt vmcnt(2)
	v_mad_u64_u32 v[5:6], null, s0, v18, 0
	s_waitcnt vmcnt(1)
	v_mad_u64_u32 v[14:15], null, s0, v21, 0
	v_mov_b32_e32 v20, v4
	v_mov_b32_e32 v4, v6
	v_lshlrev_b64 v[7:8], 4, v[19:20]
	v_mov_b32_e32 v6, v15
	v_mad_u64_u32 v[9:10], null, s1, v18, v[4:5]
	v_mad_u64_u32 v[10:11], null, s1, v21, v[6:7]
	v_add_co_u32 v18, vcc_lo, v26, v7
	v_add_co_ci_u32_e32 v19, vcc_lo, v27, v8, vcc_lo
	v_mov_b32_e32 v6, v9
	v_mov_b32_e32 v15, v10
	v_lshlrev_b64 v[23:24], 4, v[14:15]
	s_waitcnt vmcnt(0)
	v_mad_u64_u32 v[16:17], null, s0, v12, 0
	v_mov_b32_e32 v4, v17
	v_mad_u64_u32 v[20:21], null, s1, v12, v[4:5]
	v_lshlrev_b64 v[21:22], 4, v[5:6]
	ds_read_b128 v[4:7], v25 offset:2560
	ds_read_b128 v[8:11], v25 offset:2816
	ds_read_b128 v[12:15], v25 offset:3072
	v_mov_b32_e32 v17, v20
	v_add_co_u32 v20, vcc_lo, v26, v21
	v_add_co_ci_u32_e32 v21, vcc_lo, v27, v22, vcc_lo
	v_lshlrev_b64 v[16:17], 4, v[16:17]
	v_add_co_u32 v22, vcc_lo, v26, v23
	v_add_co_ci_u32_e32 v23, vcc_lo, v27, v24, vcc_lo
	v_add_co_u32 v16, vcc_lo, v26, v16
	v_add_co_ci_u32_e32 v17, vcc_lo, v27, v17, vcc_lo
	s_waitcnt lgkmcnt(3)
	global_store_dwordx4 v[18:19], v[0:3], off
	s_waitcnt lgkmcnt(2)
	global_store_dwordx4 v[20:21], v[4:7], off
	;; [unrolled: 2-line block ×4, first 2 shown]
.LBB0_20:
	s_endpgm
	.section	.rodata,"a",@progbits
	.p2align	6, 0x0
	.amdhsa_kernel fft_rtc_back_len208_factors_13_16_wgs_144_tpt_16_dp_ip_CI_sbcc_twdbase8_3step
		.amdhsa_group_segment_fixed_size 0
		.amdhsa_private_segment_fixed_size 96
		.amdhsa_kernarg_size 96
		.amdhsa_user_sgpr_count 6
		.amdhsa_user_sgpr_private_segment_buffer 1
		.amdhsa_user_sgpr_dispatch_ptr 0
		.amdhsa_user_sgpr_queue_ptr 0
		.amdhsa_user_sgpr_kernarg_segment_ptr 1
		.amdhsa_user_sgpr_dispatch_id 0
		.amdhsa_user_sgpr_flat_scratch_init 0
		.amdhsa_user_sgpr_private_segment_size 0
		.amdhsa_wavefront_size32 1
		.amdhsa_uses_dynamic_stack 0
		.amdhsa_system_sgpr_private_segment_wavefront_offset 1
		.amdhsa_system_sgpr_workgroup_id_x 1
		.amdhsa_system_sgpr_workgroup_id_y 0
		.amdhsa_system_sgpr_workgroup_id_z 0
		.amdhsa_system_sgpr_workgroup_info 0
		.amdhsa_system_vgpr_workitem_id 0
		.amdhsa_next_free_vgpr 256
		.amdhsa_next_free_sgpr 56
		.amdhsa_reserve_vcc 1
		.amdhsa_reserve_flat_scratch 0
		.amdhsa_float_round_mode_32 0
		.amdhsa_float_round_mode_16_64 0
		.amdhsa_float_denorm_mode_32 3
		.amdhsa_float_denorm_mode_16_64 3
		.amdhsa_dx10_clamp 1
		.amdhsa_ieee_mode 1
		.amdhsa_fp16_overflow 0
		.amdhsa_workgroup_processor_mode 1
		.amdhsa_memory_ordered 1
		.amdhsa_forward_progress 0
		.amdhsa_shared_vgpr_count 0
		.amdhsa_exception_fp_ieee_invalid_op 0
		.amdhsa_exception_fp_denorm_src 0
		.amdhsa_exception_fp_ieee_div_zero 0
		.amdhsa_exception_fp_ieee_overflow 0
		.amdhsa_exception_fp_ieee_underflow 0
		.amdhsa_exception_fp_ieee_inexact 0
		.amdhsa_exception_int_div_zero 0
	.end_amdhsa_kernel
	.text
.Lfunc_end0:
	.size	fft_rtc_back_len208_factors_13_16_wgs_144_tpt_16_dp_ip_CI_sbcc_twdbase8_3step, .Lfunc_end0-fft_rtc_back_len208_factors_13_16_wgs_144_tpt_16_dp_ip_CI_sbcc_twdbase8_3step
                                        ; -- End function
	.section	.AMDGPU.csdata,"",@progbits
; Kernel info:
; codeLenInByte = 13436
; NumSgprs: 58
; NumVgprs: 256
; ScratchSize: 96
; MemoryBound: 0
; FloatMode: 240
; IeeeMode: 1
; LDSByteSize: 0 bytes/workgroup (compile time only)
; SGPRBlocks: 7
; VGPRBlocks: 31
; NumSGPRsForWavesPerEU: 58
; NumVGPRsForWavesPerEU: 256
; Occupancy: 4
; WaveLimiterHint : 1
; COMPUTE_PGM_RSRC2:SCRATCH_EN: 1
; COMPUTE_PGM_RSRC2:USER_SGPR: 6
; COMPUTE_PGM_RSRC2:TRAP_HANDLER: 0
; COMPUTE_PGM_RSRC2:TGID_X_EN: 1
; COMPUTE_PGM_RSRC2:TGID_Y_EN: 0
; COMPUTE_PGM_RSRC2:TGID_Z_EN: 0
; COMPUTE_PGM_RSRC2:TIDIG_COMP_CNT: 0
	.text
	.p2alignl 6, 3214868480
	.fill 48, 4, 3214868480
	.type	__hip_cuid_2d5dc979f13633ce,@object ; @__hip_cuid_2d5dc979f13633ce
	.section	.bss,"aw",@nobits
	.globl	__hip_cuid_2d5dc979f13633ce
__hip_cuid_2d5dc979f13633ce:
	.byte	0                               ; 0x0
	.size	__hip_cuid_2d5dc979f13633ce, 1

	.ident	"AMD clang version 19.0.0git (https://github.com/RadeonOpenCompute/llvm-project roc-6.4.0 25133 c7fe45cf4b819c5991fe208aaa96edf142730f1d)"
	.section	".note.GNU-stack","",@progbits
	.addrsig
	.addrsig_sym __hip_cuid_2d5dc979f13633ce
	.amdgpu_metadata
---
amdhsa.kernels:
  - .args:
      - .actual_access:  read_only
        .address_space:  global
        .offset:         0
        .size:           8
        .value_kind:     global_buffer
      - .address_space:  global
        .offset:         8
        .size:           8
        .value_kind:     global_buffer
      - .offset:         16
        .size:           8
        .value_kind:     by_value
      - .actual_access:  read_only
        .address_space:  global
        .offset:         24
        .size:           8
        .value_kind:     global_buffer
      - .actual_access:  read_only
        .address_space:  global
        .offset:         32
        .size:           8
        .value_kind:     global_buffer
      - .offset:         40
        .size:           8
        .value_kind:     by_value
      - .actual_access:  read_only
        .address_space:  global
        .offset:         48
        .size:           8
        .value_kind:     global_buffer
      - .actual_access:  read_only
        .address_space:  global
        .offset:         56
        .size:           8
        .value_kind:     global_buffer
      - .offset:         64
        .size:           4
        .value_kind:     by_value
      - .actual_access:  read_only
        .address_space:  global
        .offset:         72
        .size:           8
        .value_kind:     global_buffer
      - .actual_access:  read_only
        .address_space:  global
        .offset:         80
        .size:           8
        .value_kind:     global_buffer
      - .address_space:  global
        .offset:         88
        .size:           8
        .value_kind:     global_buffer
    .group_segment_fixed_size: 0
    .kernarg_segment_align: 8
    .kernarg_segment_size: 96
    .language:       OpenCL C
    .language_version:
      - 2
      - 0
    .max_flat_workgroup_size: 144
    .name:           fft_rtc_back_len208_factors_13_16_wgs_144_tpt_16_dp_ip_CI_sbcc_twdbase8_3step
    .private_segment_fixed_size: 96
    .sgpr_count:     58
    .sgpr_spill_count: 0
    .symbol:         fft_rtc_back_len208_factors_13_16_wgs_144_tpt_16_dp_ip_CI_sbcc_twdbase8_3step.kd
    .uniform_work_group_size: 1
    .uses_dynamic_stack: false
    .vgpr_count:     256
    .vgpr_spill_count: 27
    .wavefront_size: 32
    .workgroup_processor_mode: 1
amdhsa.target:   amdgcn-amd-amdhsa--gfx1030
amdhsa.version:
  - 1
  - 2
...

	.end_amdgpu_metadata
